;; amdgpu-corpus repo=ROCm/rocFFT kind=compiled arch=gfx950 opt=O3
	.text
	.amdgcn_target "amdgcn-amd-amdhsa--gfx950"
	.amdhsa_code_object_version 6
	.protected	bluestein_single_back_len1750_dim1_sp_op_CI_CI ; -- Begin function bluestein_single_back_len1750_dim1_sp_op_CI_CI
	.globl	bluestein_single_back_len1750_dim1_sp_op_CI_CI
	.p2align	8
	.type	bluestein_single_back_len1750_dim1_sp_op_CI_CI,@function
bluestein_single_back_len1750_dim1_sp_op_CI_CI: ; @bluestein_single_back_len1750_dim1_sp_op_CI_CI
; %bb.0:
	s_load_dwordx4 s[12:15], s[0:1], 0x28
	v_mul_u32_u24_e32 v1, 0x177, v0
	v_mov_b32_e32 v81, 0
	v_add_u32_sdwa v90, s2, v1 dst_sel:DWORD dst_unused:UNUSED_PAD src0_sel:DWORD src1_sel:WORD_1
	v_mov_b32_e32 v91, v81
	s_waitcnt lgkmcnt(0)
	v_cmp_gt_u64_e32 vcc, s[12:13], v[90:91]
	s_and_saveexec_b64 s[2:3], vcc
	s_cbranch_execz .LBB0_12
; %bb.1:
	s_load_dwordx4 s[4:7], s[0:1], 0x18
	s_load_dwordx4 s[8:11], s[0:1], 0x0
	v_mov_b32_e32 v2, s14
	v_mov_b32_e32 v3, s15
	s_movk_i32 s2, 0xaf
	s_waitcnt lgkmcnt(0)
	s_load_dwordx4 s[12:15], s[4:5], 0x0
	v_mul_lo_u16_sdwa v1, v1, s2 dst_sel:DWORD dst_unused:UNUSED_PAD src0_sel:WORD_1 src1_sel:DWORD
	v_sub_u16_e32 v80, v0, v1
	v_mov_b32_e32 v24, 0x1b58
	v_lshlrev_b32_e32 v102, 3, v80
	s_waitcnt lgkmcnt(0)
	v_mad_u64_u32 v[0:1], s[2:3], s14, v90, 0
	v_mov_b32_e32 v4, v1
	v_mad_u64_u32 v[4:5], s[2:3], s15, v90, v[4:5]
	v_mov_b32_e32 v1, v4
	v_mad_u64_u32 v[4:5], s[2:3], s12, v80, 0
	v_mov_b32_e32 v6, v5
	v_mad_u64_u32 v[6:7], s[2:3], s13, v80, v[6:7]
	v_mov_b32_e32 v5, v6
	v_lshl_add_u64 v[0:1], v[0:1], 3, v[2:3]
	v_lshl_add_u64 v[0:1], v[4:5], 3, v[0:1]
	global_load_dwordx2 v[2:3], v[0:1], off
	v_mov_b32_e32 v103, v81
	v_mad_u64_u32 v[0:1], s[2:3], s12, v24, v[0:1]
	s_mul_i32 s4, s13, 0x1b58
	v_lshl_add_u64 v[4:5], s[8:9], 0, v[102:103]
	v_add_u32_e32 v1, s4, v1
	s_movk_i32 s2, 0x1000
	v_mov_b32_e32 v25, 0xffffea20
	global_load_dwordx2 v[6:7], v[0:1], off
	v_add_co_u32_e32 v8, vcc, s2, v4
	v_mad_u64_u32 v[0:1], s[2:3], s12, v25, v[0:1]
	s_mul_i32 s2, s13, 0xffffea20
	s_sub_i32 s5, s2, s12
	v_add_u32_e32 v1, s5, v1
	v_mad_u64_u32 v[10:11], s[2:3], s12, v24, v[0:1]
	v_addc_co_u32_e32 v9, vcc, 0, v5, vcc
	v_add_u32_e32 v11, s4, v11
	s_movk_i32 s2, 0x2000
	v_add_co_u32_e32 v12, vcc, s2, v4
	v_mad_u64_u32 v[14:15], s[2:3], s12, v25, v[10:11]
	s_nop 0
	v_addc_co_u32_e32 v13, vcc, 0, v5, vcc
	v_add_u32_e32 v15, s5, v15
	global_load_dwordx2 v[98:99], v[8:9], off offset:2904
	global_load_dwordx2 v[104:105], v102, s[8:9]
	global_load_dwordx2 v[100:101], v102, s[8:9] offset:1400
	global_load_dwordx2 v[94:95], v[12:13], off offset:208
	v_add_u32_e32 v62, 0x1400, v102
	global_load_dwordx2 v[0:1], v[0:1], off
	s_nop 0
	global_load_dwordx2 v[16:17], v[10:11], off
	global_load_dwordx2 v[18:19], v[14:15], off
	global_load_dwordx2 v[92:93], v102, s[8:9] offset:2800
	v_mad_u64_u32 v[10:11], s[2:3], s12, v24, v[14:15]
	v_add_u32_e32 v11, s4, v11
	global_load_dwordx2 v[14:15], v[10:11], off
	v_mad_u64_u32 v[10:11], s[2:3], s12, v25, v[10:11]
	v_add_u32_e32 v11, s5, v11
	global_load_dwordx2 v[20:21], v[10:11], off
	global_load_dwordx2 v[96:97], v[12:13], off offset:1608
	global_load_dwordx2 v[88:89], v[8:9], off offset:104
	v_mad_u64_u32 v[10:11], s[2:3], s12, v24, v[10:11]
	v_add_u32_e32 v11, s4, v11
	global_load_dwordx2 v[22:23], v[10:11], off
	global_load_dwordx2 v[86:87], v[12:13], off offset:3008
	v_mad_u64_u32 v[10:11], s[2:3], s12, v25, v[10:11]
	v_add_u32_e32 v11, s5, v11
	global_load_dwordx2 v[12:13], v[10:11], off
	global_load_dwordx2 v[82:83], v[8:9], off offset:1504
	v_mad_u64_u32 v[8:9], s[2:3], s12, v24, v[10:11]
	s_movk_i32 s2, 0x3000
	s_nop 0
	v_add_co_u32_e32 v4, vcc, s2, v4
	v_add_u32_e32 v9, s4, v9
	s_nop 0
	v_addc_co_u32_e32 v5, vcc, 0, v5, vcc
	global_load_dwordx2 v[84:85], v[4:5], off offset:312
	global_load_dwordx2 v[10:11], v[8:9], off
	s_load_dwordx4 s[4:7], s[6:7], 0x0
	s_mov_b64 s[2:3], 0xaf
	v_lshl_add_u64 v[122:123], v[80:81], 0, s[2:3]
	v_and_b32_e32 v63, 1, v122
	v_lshlrev_b32_e32 v107, 4, v80
	v_lshlrev_b32_e32 v91, 4, v122
	s_mov_b32 s2, 0x3f737871
	s_mov_b32 s12, 0x3f167918
	s_mov_b32 s14, 0x3e9e377a
                                        ; implicit-def: $vgpr148
                                        ; implicit-def: $vgpr150
                                        ; implicit-def: $vgpr144
                                        ; implicit-def: $vgpr146
                                        ; implicit-def: $vgpr152
                                        ; implicit-def: $vgpr78
	s_waitcnt vmcnt(16)
	v_mul_f32_e32 v4, v3, v105
	v_mul_f32_e32 v5, v2, v105
	v_fmac_f32_e32 v4, v2, v104
	v_fma_f32 v5, v3, v104, -v5
	v_mul_f32_e32 v2, v7, v99
	v_mul_f32_e32 v3, v6, v99
	v_fmac_f32_e32 v2, v6, v98
	v_fma_f32 v3, v7, v98, -v3
	ds_write_b64 v102, v[2:3] offset:7000
	s_waitcnt vmcnt(13)
	v_mul_f32_e32 v2, v1, v101
	v_fmac_f32_e32 v2, v0, v100
	v_mul_f32_e32 v0, v0, v101
	v_fma_f32 v3, v1, v100, -v0
	ds_write2_b64 v102, v[4:5], v[2:3] offset1:175
	s_waitcnt vmcnt(12)
	v_mul_f32_e32 v0, v17, v95
	v_mul_f32_e32 v1, v16, v95
	s_waitcnt vmcnt(7)
	v_mul_f32_e32 v4, v15, v97
	v_mul_f32_e32 v5, v14, v97
	v_fmac_f32_e32 v0, v16, v94
	v_fma_f32 v1, v17, v94, -v1
	v_fmac_f32_e32 v4, v14, v96
	v_fma_f32 v5, v15, v96, -v5
	v_add_u32_e32 v16, 0x2000, v102
	v_mul_f32_e32 v2, v19, v93
	v_mul_f32_e32 v3, v18, v93
	ds_write2_b64 v16, v[0:1], v[4:5] offset0:26 offset1:201
	s_waitcnt vmcnt(6)
	v_mul_f32_e32 v0, v21, v89
	v_mul_f32_e32 v1, v20, v89
	v_fmac_f32_e32 v2, v18, v92
	v_fma_f32 v3, v19, v92, -v3
	v_fmac_f32_e32 v0, v20, v88
	v_fma_f32 v1, v21, v88, -v1
	v_add_u32_e32 v17, 0xa00, v102
	ds_write2_b64 v17, v[2:3], v[0:1] offset0:30 offset1:205
	s_waitcnt vmcnt(2)
	v_mul_f32_e32 v2, v13, v83
	v_mul_f32_e32 v3, v12, v83
	v_fmac_f32_e32 v2, v12, v82
	v_fma_f32 v3, v13, v82, -v3
	v_mul_f32_e32 v0, v23, v87
	v_mul_f32_e32 v1, v22, v87
	ds_write_b64 v102, v[2:3] offset:5600
	s_waitcnt vmcnt(0)
	v_mul_f32_e32 v2, v11, v85
	v_mul_f32_e32 v3, v10, v85
	v_fmac_f32_e32 v0, v22, v86
	v_fma_f32 v1, v23, v86, -v1
	v_fmac_f32_e32 v2, v10, v84
	v_fma_f32 v3, v11, v84, -v3
	v_add_u32_e32 v18, 0x2a00, v102
	ds_write2_b64 v18, v[0:1], v[2:3] offset0:56 offset1:231
	s_waitcnt lgkmcnt(0)
	s_barrier
	ds_read2_b64 v[0:3], v16 offset0:26 offset1:201
	ds_read2_b64 v[4:7], v17 offset0:30 offset1:205
	;; [unrolled: 1-line block ×3, first 2 shown]
	ds_read2_b64 v[12:15], v102 offset1:175
	v_lshlrev_b16_e32 v19, 1, v80
	v_lshlrev_b32_e32 v103, 3, v19
	s_waitcnt lgkmcnt(2)
	v_pk_add_f32 v[22:23], v[4:5], v[2:3] neg_lo:[0,1] neg_hi:[0,1]
	v_and_b32_e32 v19, 1, v80
	v_pk_fma_f32 v[20:21], v[4:5], 2.0, v[22:23] op_sel_hi:[1,0,1] neg_lo:[0,0,1] neg_hi:[0,0,1]
	s_waitcnt lgkmcnt(1)
	v_pk_add_f32 v[4:5], v[6:7], v[8:9] neg_lo:[0,1] neg_hi:[0,1]
	s_waitcnt lgkmcnt(0)
	v_pk_add_f32 v[26:27], v[14:15], v[0:1] neg_lo:[0,1] neg_hi:[0,1]
	v_pk_fma_f32 v[2:3], v[6:7], 2.0, v[4:5] op_sel_hi:[1,0,1] neg_lo:[0,0,1] neg_hi:[0,0,1]
	ds_read2_b64 v[6:9], v62 offset0:60 offset1:235
	v_pk_fma_f32 v[24:25], v[14:15], 2.0, v[26:27] op_sel_hi:[1,0,1] neg_lo:[0,0,1] neg_hi:[0,0,1]
	s_waitcnt lgkmcnt(0)
	s_barrier
	v_pk_add_f32 v[30:31], v[6:7], v[10:11] neg_lo:[0,1] neg_hi:[0,1]
	v_pk_add_f32 v[8:9], v[12:13], v[8:9] neg_lo:[0,1] neg_hi:[0,1]
	v_pk_fma_f32 v[28:29], v[6:7], 2.0, v[30:31] op_sel_hi:[1,0,1] neg_lo:[0,0,1] neg_hi:[0,0,1]
	v_pk_fma_f32 v[6:7], v[12:13], 2.0, v[8:9] op_sel_hi:[1,0,1] neg_lo:[0,0,1] neg_hi:[0,0,1]
	ds_write_b128 v103, v[6:9]
	ds_write_b128 v91, v[24:27]
	ds_write_b128 v107, v[20:23] offset:5600
	ds_write_b128 v107, v[2:5] offset:8400
	;; [unrolled: 1-line block ×3, first 2 shown]
	v_lshlrev_b32_e32 v21, 5, v63
	s_waitcnt lgkmcnt(0)
	s_barrier
	v_lshlrev_b32_e32 v20, 5, v19
	global_load_dwordx4 v[4:7], v21, s[10:11]
	global_load_dwordx4 v[0:3], v20, s[10:11]
	global_load_dwordx4 v[12:15], v21, s[10:11] offset:16
	global_load_dwordx4 v[8:11], v20, s[10:11] offset:16
	ds_read2_b64 v[20:23], v17 offset0:30 offset1:205
	ds_read2_b64 v[24:27], v62 offset0:60 offset1:235
	;; [unrolled: 1-line block ×3, first 2 shown]
	s_waitcnt vmcnt(3) lgkmcnt(2)
	v_pk_mul_f32 v[32:33], v[22:23], v[4:5] op_sel:[0,1]
	s_waitcnt vmcnt(2)
	v_pk_mul_f32 v[34:35], v[20:21], v[0:1] op_sel:[0,1]
	v_mov_b32_e32 v110, v7
	v_mov_b32_e32 v106, v3
	v_pk_fma_f32 v[38:39], v[22:23], v[4:5], v[32:33] op_sel:[0,0,1] op_sel_hi:[1,1,0] neg_lo:[0,0,1] neg_hi:[0,0,1]
	v_pk_fma_f32 v[32:33], v[22:23], v[4:5], v[32:33] op_sel:[0,0,1] op_sel_hi:[1,0,0]
	v_pk_fma_f32 v[40:41], v[20:21], v[0:1], v[34:35] op_sel:[0,0,1] op_sel_hi:[1,1,0] neg_lo:[0,0,1] neg_hi:[0,0,1]
	v_pk_fma_f32 v[34:35], v[20:21], v[0:1], v[34:35] op_sel:[0,0,1] op_sel_hi:[1,0,0]
	s_waitcnt lgkmcnt(1)
	v_pk_mul_f32 v[20:21], v[26:27], v[110:111] op_sel_hi:[1,0]
	v_pk_mul_f32 v[22:23], v[24:25], v[106:107] op_sel_hi:[1,0]
	v_pk_fma_f32 v[44:45], v[26:27], v[6:7], v[20:21] op_sel:[0,0,1] op_sel_hi:[1,1,0] neg_lo:[0,0,1] neg_hi:[0,0,1]
	v_pk_fma_f32 v[26:27], v[26:27], v[6:7], v[20:21] op_sel:[0,0,1] op_sel_hi:[1,0,0]
	v_pk_fma_f32 v[46:47], v[24:25], v[2:3], v[22:23] op_sel:[0,0,1] op_sel_hi:[1,1,0] neg_lo:[0,0,1] neg_hi:[0,0,1]
	v_pk_fma_f32 v[24:25], v[24:25], v[2:3], v[22:23] op_sel:[0,0,1] op_sel_hi:[1,0,0]
	ds_read2_b64 v[20:23], v18 offset0:56 offset1:231
	s_waitcnt vmcnt(1) lgkmcnt(1)
	v_pk_mul_f32 v[36:37], v[30:31], v[12:13] op_sel:[0,1]
	v_mov_b32_e32 v112, v15
	v_pk_fma_f32 v[42:43], v[30:31], v[12:13], v[36:37] op_sel:[0,0,1] op_sel_hi:[1,1,0] neg_lo:[0,0,1] neg_hi:[0,0,1]
	v_pk_fma_f32 v[30:31], v[30:31], v[12:13], v[36:37] op_sel:[0,0,1] op_sel_hi:[1,0,0]
	s_waitcnt vmcnt(0)
	v_pk_mul_f32 v[36:37], v[28:29], v[8:9] op_sel:[0,1]
	v_mov_b32_e32 v108, v11
	v_pk_fma_f32 v[48:49], v[28:29], v[8:9], v[36:37] op_sel:[0,0,1] op_sel_hi:[1,1,0] neg_lo:[0,0,1] neg_hi:[0,0,1]
	v_pk_fma_f32 v[28:29], v[28:29], v[8:9], v[36:37] op_sel:[0,0,1] op_sel_hi:[1,0,0]
	s_waitcnt lgkmcnt(0)
	v_pk_mul_f32 v[36:37], v[22:23], v[112:113] op_sel_hi:[1,0]
	v_mov_b32_e32 v41, v35
	v_pk_fma_f32 v[50:51], v[22:23], v[14:15], v[36:37] op_sel:[0,0,1] op_sel_hi:[1,1,0] neg_lo:[0,0,1] neg_hi:[0,0,1]
	v_pk_fma_f32 v[36:37], v[22:23], v[14:15], v[36:37] op_sel:[0,0,1] op_sel_hi:[1,0,0]
	v_pk_mul_f32 v[22:23], v[20:21], v[108:109] op_sel_hi:[1,0]
	v_mov_b32_e32 v47, v25
	v_pk_fma_f32 v[52:53], v[20:21], v[10:11], v[22:23] op_sel:[0,0,1] op_sel_hi:[1,1,0] neg_lo:[0,0,1] neg_hi:[0,0,1]
	v_pk_fma_f32 v[20:21], v[20:21], v[10:11], v[22:23] op_sel:[0,0,1] op_sel_hi:[1,0,0]
	v_mov_b32_e32 v49, v29
	v_mov_b32_e32 v53, v21
	ds_read2_b64 v[20:23], v102 offset1:175
	v_pk_add_f32 v[24:25], v[40:41], v[46:47] neg_lo:[0,1] neg_hi:[0,1]
	v_pk_add_f32 v[28:29], v[52:53], v[48:49] neg_lo:[0,1] neg_hi:[0,1]
	v_pk_add_f32 v[34:35], v[40:41], v[52:53] neg_lo:[0,1] neg_hi:[0,1]
	v_pk_add_f32 v[24:25], v[24:25], v[28:29]
	v_pk_add_f32 v[28:29], v[46:47], v[48:49]
	v_pk_mul_f32 v[54:55], v[34:35], s[2:3] op_sel_hi:[1,0]
	s_waitcnt lgkmcnt(0)
	v_pk_fma_f32 v[28:29], v[28:29], 0.5, v[20:21] op_sel_hi:[1,0,1] neg_lo:[1,0,0] neg_hi:[1,0,0]
	v_lshrrev_b32_e32 v3, 1, v80
	v_pk_add_f32 v[56:57], v[28:29], v[54:55] op_sel:[0,1] op_sel_hi:[1,0]
	v_pk_add_f32 v[28:29], v[28:29], v[54:55] op_sel:[0,1] op_sel_hi:[1,0] neg_lo:[0,1] neg_hi:[0,1]
	v_pk_add_f32 v[54:55], v[46:47], v[48:49] neg_lo:[0,1] neg_hi:[0,1]
	v_pk_mul_f32 v[34:35], v[34:35], s[12:13] op_sel_hi:[1,0]
	v_pk_mul_f32 v[58:59], v[54:55], s[12:13] op_sel_hi:[1,0]
	v_mul_u32_u24_e32 v3, 10, v3
	v_pk_add_f32 v[28:29], v[28:29], v[58:59] op_sel:[0,1] op_sel_hi:[1,0] neg_lo:[0,1] neg_hi:[0,1]
	v_pk_add_f32 v[56:57], v[56:57], v[58:59] op_sel:[0,1] op_sel_hi:[1,0]
	v_pk_add_f32 v[58:59], v[20:21], v[40:41]
	v_or_b32_e32 v3, v3, v19
	v_pk_add_f32 v[58:59], v[58:59], v[46:47]
	v_pk_add_f32 v[46:47], v[46:47], v[40:41] neg_lo:[0,1] neg_hi:[0,1]
	v_pk_add_f32 v[40:41], v[40:41], v[52:53]
	v_pk_add_f32 v[58:59], v[58:59], v[48:49]
	v_pk_add_f32 v[48:49], v[48:49], v[52:53] neg_lo:[0,1] neg_hi:[0,1]
	v_pk_fma_f32 v[20:21], v[40:41], 0.5, v[20:21] op_sel_hi:[1,0,1] neg_lo:[1,0,0] neg_hi:[1,0,0]
	v_pk_mul_f32 v[40:41], v[54:55], s[2:3] op_sel_hi:[1,0]
	v_pk_add_f32 v[46:47], v[46:47], v[48:49]
	v_pk_add_f32 v[48:49], v[20:21], v[40:41] op_sel:[0,1] op_sel_hi:[1,0] neg_lo:[0,1] neg_hi:[0,1]
	v_pk_add_f32 v[20:21], v[20:21], v[40:41] op_sel:[0,1] op_sel_hi:[1,0]
	v_lshlrev_b32_e32 v123, 3, v3
	v_pk_add_f32 v[20:21], v[20:21], v[34:35] op_sel:[0,1] op_sel_hi:[1,0] neg_lo:[0,1] neg_hi:[0,1]
	v_pk_add_f32 v[34:35], v[48:49], v[34:35] op_sel:[0,1] op_sel_hi:[1,0]
	v_mov_b32_e32 v41, v21
	v_mov_b32_e32 v40, v34
	;; [unrolled: 1-line block ×4, first 2 shown]
	v_pk_fma_f32 v[34:35], v[46:47], s[14:15], v[40:41] op_sel_hi:[1,0,1]
	v_pk_fma_f32 v[20:21], v[46:47], s[14:15], v[20:21] op_sel_hi:[1,0,1]
	v_mov_b32_e32 v29, v57
	s_barrier
	v_mov_b32_e32 v60, v56
	ds_write2_b64 v123, v[34:35], v[20:21] offset0:4 offset1:6
	v_mov_b32_e32 v39, v33
	v_mov_b32_e32 v45, v27
	;; [unrolled: 1-line block ×4, first 2 shown]
	v_pk_fma_f32 v[20:21], v[24:25], s[14:15], v[28:29] op_sel_hi:[1,0,1]
	v_pk_fma_f32 v[60:61], v[24:25], s[14:15], v[60:61] op_sel_hi:[1,0,1]
	ds_write_b64 v123, v[20:21] offset:64
	v_pk_add_f32 v[20:21], v[38:39], v[44:45] neg_lo:[0,1] neg_hi:[0,1]
	v_pk_add_f32 v[24:25], v[50:51], v[42:43] neg_lo:[0,1] neg_hi:[0,1]
	;; [unrolled: 1-line block ×3, first 2 shown]
	v_pk_add_f32 v[20:21], v[20:21], v[24:25]
	v_pk_add_f32 v[24:25], v[44:45], v[42:43]
	v_pk_mul_f32 v[28:29], v[26:27], s[2:3] op_sel_hi:[1,0]
	v_pk_fma_f32 v[24:25], v[24:25], 0.5, v[22:23] op_sel_hi:[1,0,1] neg_lo:[1,0,0] neg_hi:[1,0,0]
	v_lshrrev_b32_e32 v3, 1, v122
	v_pk_add_f32 v[30:31], v[24:25], v[28:29] op_sel:[0,1] op_sel_hi:[1,0]
	v_pk_add_f32 v[24:25], v[24:25], v[28:29] op_sel:[0,1] op_sel_hi:[1,0] neg_lo:[0,1] neg_hi:[0,1]
	v_pk_add_f32 v[28:29], v[44:45], v[42:43] neg_lo:[0,1] neg_hi:[0,1]
	v_mul_u32_u24_e32 v3, 10, v3
	v_pk_mul_f32 v[32:33], v[28:29], s[12:13] op_sel_hi:[1,0]
	v_or_b32_e32 v3, v3, v63
	v_pk_add_f32 v[24:25], v[24:25], v[32:33] op_sel:[0,1] op_sel_hi:[1,0] neg_lo:[0,1] neg_hi:[0,1]
	v_pk_add_f32 v[30:31], v[30:31], v[32:33] op_sel:[0,1] op_sel_hi:[1,0]
	v_pk_add_f32 v[32:33], v[22:23], v[38:39]
	v_mov_b32_e32 v34, v30
	v_pk_add_f32 v[32:33], v[32:33], v[44:45]
	v_mov_b32_e32 v35, v25
	v_pk_add_f32 v[32:33], v[32:33], v[42:43]
	v_pk_add_f32 v[58:59], v[58:59], v[52:53]
	v_lshlrev_b32_e32 v147, 3, v3
	v_pk_add_f32 v[32:33], v[32:33], v[50:51]
	v_pk_fma_f32 v[34:35], v[20:21], s[14:15], v[34:35] op_sel_hi:[1,0,1]
	v_pk_mul_f32 v[28:29], v[28:29], s[2:3] op_sel_hi:[1,0]
	s_mov_b32 s3, 0xcccd
	ds_write2_b64 v123, v[58:59], v[60:61] offset1:2
	ds_write2_b64 v147, v[32:33], v[34:35] offset1:2
	v_pk_add_f32 v[32:33], v[38:39], v[50:51]
	v_mul_u32_u24_sdwa v3, v122, s3 dst_sel:DWORD dst_unused:UNUSED_PAD src0_sel:WORD_0 src1_sel:DWORD
	v_pk_fma_f32 v[22:23], v[32:33], 0.5, v[22:23] op_sel_hi:[1,0,1] neg_lo:[1,0,0] neg_hi:[1,0,0]
	v_pk_add_f32 v[32:33], v[44:45], v[38:39] neg_lo:[0,1] neg_hi:[0,1]
	v_pk_add_f32 v[34:35], v[42:43], v[50:51] neg_lo:[0,1] neg_hi:[0,1]
	v_lshrrev_b32_e32 v3, 19, v3
	v_pk_add_f32 v[32:33], v[32:33], v[34:35]
	v_pk_add_f32 v[34:35], v[22:23], v[28:29] op_sel:[0,1] op_sel_hi:[1,0] neg_lo:[0,1] neg_hi:[0,1]
	v_pk_add_f32 v[22:23], v[22:23], v[28:29] op_sel:[0,1] op_sel_hi:[1,0]
	v_pk_mul_f32 v[26:27], v[26:27], s[12:13] op_sel_hi:[1,0]
	v_mov_b32_e32 v25, v31
	v_mul_lo_u16_e32 v7, 10, v3
	v_pk_add_f32 v[22:23], v[22:23], v[26:27] op_sel:[0,1] op_sel_hi:[1,0] neg_lo:[0,1] neg_hi:[0,1]
	v_pk_add_f32 v[26:27], v[34:35], v[26:27] op_sel:[0,1] op_sel_hi:[1,0]
	v_pk_fma_f32 v[20:21], v[20:21], s[14:15], v[24:25] op_sel_hi:[1,0,1]
	v_sub_u16_e32 v7, v122, v7
	v_mov_b32_e32 v28, v26
	v_mov_b32_e32 v29, v23
	;; [unrolled: 1-line block ×3, first 2 shown]
	ds_write_b64 v147, v[20:21] offset:64
	v_lshlrev_b16_e32 v20, 5, v7
	v_mov_b32_e32 v21, v81
	v_pk_fma_f32 v[26:27], v[32:33], s[14:15], v[28:29] op_sel_hi:[1,0,1]
	v_pk_fma_f32 v[22:23], v[32:33], s[14:15], v[22:23] op_sel_hi:[1,0,1]
	v_lshl_add_u64 v[28:29], s[10:11], 0, v[20:21]
	ds_write2_b64 v147, v[26:27], v[22:23] offset0:4 offset1:6
	s_waitcnt lgkmcnt(0)
	s_barrier
	global_load_dwordx4 v[20:23], v[28:29], off offset:64
	global_load_dwordx4 v[24:27], v[28:29], off offset:80
	s_movk_i32 s3, 0xcd
	v_mul_lo_u16_sdwa v11, v80, s3 dst_sel:DWORD dst_unused:UNUSED_PAD src0_sel:BYTE_0 src1_sel:DWORD
	v_lshrrev_b16_e32 v11, 11, v11
	v_mul_lo_u16_e32 v15, 10, v11
	v_sub_u16_e32 v15, v80, v15
	v_and_b32_e32 v15, 0xff, v15
	v_lshlrev_b32_e32 v19, 5, v15
	global_load_dwordx4 v[32:35], v19, s[10:11] offset:64
	global_load_dwordx4 v[40:43], v19, s[10:11] offset:80
	ds_read2_b64 v[28:31], v17 offset0:30 offset1:205
	ds_read2_b64 v[36:39], v62 offset0:60 offset1:235
	v_mul_u32_u24_e32 v11, 50, v11
	v_add_lshl_u32 v149, v11, v15, 3
	v_mad_legacy_u16 v3, v3, 50, v7
	v_lshlrev_b32_e32 v151, 3, v3
	v_add_u32_e32 v3, 0xf80, v102
	v_add_u32_e32 v7, 0x1f40, v102
	v_mov_b32_e32 v132, v9
	v_mov_b32_e32 v134, v1
	;; [unrolled: 1-line block ×4, first 2 shown]
	s_waitcnt vmcnt(3) lgkmcnt(1)
	v_pk_mul_f32 v[44:45], v[30:31], v[20:21] op_sel:[0,1]
	v_mov_b32_e32 v120, v23
	v_pk_fma_f32 v[50:51], v[30:31], v[20:21], v[44:45] op_sel:[0,0,1] op_sel_hi:[1,1,0] neg_lo:[0,0,1] neg_hi:[0,0,1]
	v_pk_fma_f32 v[30:31], v[30:31], v[20:21], v[44:45] op_sel:[0,0,1] op_sel_hi:[1,0,0]
	ds_read2_b64 v[44:47], v16 offset0:26 offset1:201
	s_waitcnt lgkmcnt(1)
	v_pk_mul_f32 v[16:17], v[38:39], v[120:121] op_sel_hi:[1,0]
	s_waitcnt vmcnt(2)
	v_mov_b32_e32 v118, v27
	v_pk_fma_f32 v[52:53], v[38:39], v[22:23], v[16:17] op_sel:[0,0,1] op_sel_hi:[1,1,0] neg_lo:[0,0,1] neg_hi:[0,0,1]
	v_pk_fma_f32 v[38:39], v[38:39], v[22:23], v[16:17] op_sel:[0,0,1] op_sel_hi:[1,0,0]
	ds_read2_b64 v[16:19], v18 offset0:56 offset1:231
	s_waitcnt lgkmcnt(1)
	v_pk_mul_f32 v[48:49], v[46:47], v[24:25] op_sel:[0,1]
	v_mov_b32_e32 v51, v31
	v_pk_fma_f32 v[54:55], v[46:47], v[24:25], v[48:49] op_sel:[0,0,1] op_sel_hi:[1,1,0] neg_lo:[0,0,1] neg_hi:[0,0,1]
	v_pk_fma_f32 v[60:61], v[46:47], v[24:25], v[48:49] op_sel:[0,0,1] op_sel_hi:[1,0,0]
	s_waitcnt lgkmcnt(0)
	v_pk_mul_f32 v[46:47], v[18:19], v[118:119] op_sel_hi:[1,0]
	v_mov_b32_e32 v30, v31
	v_pk_fma_f32 v[62:63], v[18:19], v[26:27], v[46:47] op_sel:[0,0,1] op_sel_hi:[1,1,0] neg_lo:[0,0,1] neg_hi:[0,0,1]
	v_pk_fma_f32 v[18:19], v[18:19], v[26:27], v[46:47] op_sel:[0,0,1] op_sel_hi:[1,0,0]
	ds_read2_b64 v[46:49], v102 offset1:175
	v_mov_b32_e32 v63, v19
	v_mov_b32_e32 v31, v50
	;; [unrolled: 1-line block ×8, first 2 shown]
	v_pk_add_f32 v[64:65], v[30:31], v[18:19] neg_lo:[0,1] neg_hi:[0,1]
	v_pk_add_f32 v[30:31], v[56:57], v[30:31] neg_lo:[0,1] neg_hi:[0,1]
	;; [unrolled: 1-line block ×4, first 2 shown]
	v_pk_add_f32 v[18:19], v[30:31], v[18:19]
	v_pk_add_f32 v[30:31], v[50:51], v[62:63]
	v_pk_mul_f32 v[18:19], v[18:19], s[14:15] op_sel_hi:[1,0]
	s_waitcnt lgkmcnt(0)
	v_pk_fma_f32 v[30:31], v[30:31], 0.5, v[48:49] op_sel_hi:[1,0,1] neg_lo:[1,0,0] neg_hi:[1,0,0]
	s_waitcnt vmcnt(1)
	v_mov_b32_e32 v114, v35
	v_pk_fma_f32 v[56:57], v[66:67], s[2:3], v[30:31] op_sel_hi:[1,0,1] neg_lo:[1,0,0] neg_hi:[1,0,0]
	v_pk_fma_f32 v[30:31], v[66:67], s[2:3], v[30:31] op_sel_hi:[1,0,1]
	v_pk_fma_f32 v[56:57], v[64:65], s[12:13], v[56:57] op_sel_hi:[1,0,1]
	v_pk_fma_f32 v[30:31], v[64:65], s[12:13], v[30:31] op_sel_hi:[1,0,1] neg_lo:[1,0,0] neg_hi:[1,0,0]
	v_mov_b32_e32 v58, v56
	v_mov_b32_e32 v59, v31
	;; [unrolled: 1-line block ×3, first 2 shown]
	v_pk_add_f32 v[56:57], v[18:19], v[58:59] op_sel:[1,0] op_sel_hi:[0,1]
	v_pk_add_f32 v[58:59], v[18:19], v[30:31] op_sel:[1,0] op_sel_hi:[0,1]
	v_pk_mul_f32 v[18:19], v[28:29], v[32:33] op_sel:[0,1]
	s_waitcnt vmcnt(0)
	v_mov_b32_e32 v116, v43
	v_pk_fma_f32 v[30:31], v[28:29], v[32:33], v[18:19] op_sel:[0,0,1] op_sel_hi:[1,1,0] neg_lo:[0,0,1] neg_hi:[0,0,1]
	v_pk_fma_f32 v[18:19], v[28:29], v[32:33], v[18:19] op_sel:[0,0,1] op_sel_hi:[1,0,0]
	v_pk_mul_f32 v[28:29], v[36:37], v[114:115] op_sel_hi:[1,0]
	v_mov_b32_e32 v31, v19
	v_pk_fma_f32 v[68:69], v[36:37], v[34:35], v[28:29] op_sel:[0,0,1] op_sel_hi:[1,1,0] neg_lo:[0,0,1] neg_hi:[0,0,1]
	v_pk_fma_f32 v[28:29], v[36:37], v[34:35], v[28:29] op_sel:[0,0,1] op_sel_hi:[1,0,0]
	v_pk_mul_f32 v[36:37], v[44:45], v[40:41] op_sel:[0,1]
	v_mov_b32_e32 v69, v29
	v_pk_fma_f32 v[70:71], v[44:45], v[40:41], v[36:37] op_sel:[0,0,1] op_sel_hi:[1,1,0] neg_lo:[0,0,1] neg_hi:[0,0,1]
	v_pk_fma_f32 v[36:37], v[44:45], v[40:41], v[36:37] op_sel:[0,0,1] op_sel_hi:[1,0,0]
	v_pk_mul_f32 v[44:45], v[16:17], v[116:117] op_sel_hi:[1,0]
	v_mov_b32_e32 v71, v37
	v_pk_fma_f32 v[72:73], v[16:17], v[42:43], v[44:45] op_sel:[0,0,1] op_sel_hi:[1,1,0] neg_lo:[0,0,1] neg_hi:[0,0,1]
	v_pk_fma_f32 v[16:17], v[16:17], v[42:43], v[44:45] op_sel:[0,0,1] op_sel_hi:[1,0,0]
	v_mov_b32_e32 v53, v39
	v_mov_b32_e32 v73, v17
	v_pk_add_f32 v[16:17], v[30:31], v[68:69] neg_lo:[0,1] neg_hi:[0,1]
	v_pk_add_f32 v[18:19], v[72:73], v[70:71] neg_lo:[0,1] neg_hi:[0,1]
	v_pk_add_f32 v[28:29], v[30:31], v[72:73] neg_lo:[0,1] neg_hi:[0,1]
	v_pk_add_f32 v[16:17], v[16:17], v[18:19]
	v_pk_add_f32 v[18:19], v[68:69], v[70:71]
	v_pk_mul_f32 v[36:37], v[28:29], s[2:3] op_sel_hi:[1,0]
	v_pk_fma_f32 v[18:19], v[18:19], 0.5, v[46:47] op_sel_hi:[1,0,1] neg_lo:[1,0,0] neg_hi:[1,0,0]
	v_pk_mul_f32 v[28:29], v[28:29], s[12:13] op_sel_hi:[1,0]
	v_pk_add_f32 v[44:45], v[18:19], v[36:37] op_sel:[0,1] op_sel_hi:[1,0]
	v_pk_add_f32 v[18:19], v[18:19], v[36:37] op_sel:[0,1] op_sel_hi:[1,0] neg_lo:[0,1] neg_hi:[0,1]
	v_pk_add_f32 v[36:37], v[68:69], v[70:71] neg_lo:[0,1] neg_hi:[0,1]
	v_mov_b32_e32 v55, v61
	v_pk_mul_f32 v[74:75], v[36:37], s[12:13] op_sel_hi:[1,0]
	v_pk_mul_f32 v[36:37], v[36:37], s[2:3] op_sel_hi:[1,0]
	v_pk_add_f32 v[18:19], v[18:19], v[74:75] op_sel:[0,1] op_sel_hi:[1,0] neg_lo:[0,1] neg_hi:[0,1]
	v_pk_add_f32 v[44:45], v[44:45], v[74:75] op_sel:[0,1] op_sel_hi:[1,0]
	v_pk_add_f32 v[74:75], v[46:47], v[30:31]
	s_nop 0
	v_pk_add_f32 v[74:75], v[74:75], v[68:69]
	v_pk_add_f32 v[68:69], v[68:69], v[30:31] neg_lo:[0,1] neg_hi:[0,1]
	v_pk_add_f32 v[30:31], v[30:31], v[72:73]
	v_pk_add_f32 v[74:75], v[74:75], v[70:71]
	v_pk_fma_f32 v[30:31], v[30:31], 0.5, v[46:47] op_sel_hi:[1,0,1] neg_lo:[1,0,0] neg_hi:[1,0,0]
	v_pk_add_f32 v[70:71], v[70:71], v[72:73] neg_lo:[0,1] neg_hi:[0,1]
	v_pk_add_f32 v[46:47], v[30:31], v[36:37] op_sel:[0,1] op_sel_hi:[1,0] neg_lo:[0,1] neg_hi:[0,1]
	v_pk_add_f32 v[30:31], v[30:31], v[36:37] op_sel:[0,1] op_sel_hi:[1,0]
	v_pk_add_f32 v[68:69], v[68:69], v[70:71]
	v_pk_add_f32 v[30:31], v[30:31], v[28:29] op_sel:[0,1] op_sel_hi:[1,0] neg_lo:[0,1] neg_hi:[0,1]
	v_pk_add_f32 v[28:29], v[46:47], v[28:29] op_sel:[0,1] op_sel_hi:[1,0]
	v_mov_b32_e32 v37, v31
	v_mov_b32_e32 v36, v28
	;; [unrolled: 1-line block ×3, first 2 shown]
	v_pk_fma_f32 v[28:29], v[68:69], s[14:15], v[36:37] op_sel_hi:[1,0,1]
	v_pk_fma_f32 v[30:31], v[68:69], s[14:15], v[30:31] op_sel_hi:[1,0,1]
	s_barrier
	ds_write2_b64 v149, v[28:29], v[30:31] offset0:20 offset1:30
	v_pk_add_f32 v[28:29], v[52:53], v[54:55]
	v_mov_b32_e32 v76, v44
	v_mov_b32_e32 v77, v19
	v_pk_fma_f32 v[28:29], v[28:29], 0.5, v[48:49] op_sel_hi:[1,0,1] neg_lo:[1,0,0] neg_hi:[1,0,0]
	v_pk_add_f32 v[36:37], v[50:51], v[52:53] neg_lo:[0,1] neg_hi:[0,1]
	v_pk_add_f32 v[38:39], v[62:63], v[54:55] neg_lo:[0,1] neg_hi:[0,1]
	v_mov_b32_e32 v19, v45
	v_pk_fma_f32 v[76:77], v[16:17], s[14:15], v[76:77] op_sel_hi:[1,0,1]
	v_pk_add_f32 v[30:31], v[48:49], v[50:51]
	v_pk_add_f32 v[36:37], v[36:37], v[38:39]
	v_pk_fma_f32 v[38:39], v[64:65], s[2:3], v[28:29] op_sel_hi:[1,0,1] neg_lo:[1,0,0] neg_hi:[1,0,0]
	v_pk_fma_f32 v[28:29], v[64:65], s[2:3], v[28:29] op_sel_hi:[1,0,1]
	v_pk_fma_f32 v[16:17], v[16:17], s[14:15], v[18:19] op_sel_hi:[1,0,1]
	;; [unrolled: 1-line block ×3, first 2 shown]
	v_pk_fma_f32 v[38:39], v[66:67], s[12:13], v[38:39] op_sel_hi:[1,0,1] neg_lo:[1,0,0] neg_hi:[1,0,0]
	ds_write_b64 v149, v[16:17] offset:320
	v_pk_add_f32 v[16:17], v[30:31], v[52:53]
	v_mov_b32_e32 v19, v29
	v_pk_add_f32 v[16:17], v[16:17], v[54:55]
	v_mov_b32_e32 v29, v39
	v_pk_add_f32 v[74:75], v[74:75], v[72:73]
	v_pk_add_f32 v[16:17], v[16:17], v[62:63]
	v_pk_fma_f32 v[28:29], v[36:37], s[14:15], v[28:29] op_sel_hi:[1,0,1]
	v_mov_b32_e32 v18, v38
	ds_write2_b64 v149, v[74:75], v[76:77] offset1:10
	ds_write2_b64 v151, v[16:17], v[28:29] offset1:10
	v_pk_fma_f32 v[64:65], v[36:37], s[14:15], v[18:19] op_sel_hi:[1,0,1]
	ds_write2_b64 v151, v[56:57], v[58:59] offset0:20 offset1:30
	ds_write_b64 v151, v[64:65] offset:320
	s_waitcnt lgkmcnt(0)
	s_barrier
	ds_read_b64 v[142:143], v102 offset:12000
	ds_read2_b64 v[72:75], v3 offset0:4 offset1:254
	ds_read2_b64 v[68:71], v7 offset1:250
	ds_read2_b64 v[60:63], v102 offset1:250
	s_load_dwordx2 s[12:13], s[0:1], 0x38
	s_movk_i32 s0, 0x4a
	s_movk_i32 s2, 0x4b
	v_cmp_lt_u16_e64 s[0:1], s0, v80
	v_cmp_gt_u16_e32 vcc, s2, v80
	v_mov_b32_e32 v124, v41
	v_mov_b32_e32 v126, v33
	;; [unrolled: 1-line block ×4, first 2 shown]
	s_and_saveexec_b64 s[2:3], vcc
	s_cbranch_execz .LBB0_3
; %bb.2:
	v_add_u32_e32 v1, 0x1500, v102
	ds_read2_b64 v[64:67], v1 offset0:3 offset1:253
	v_add_u32_e32 v1, 0x24a0, v102
	ds_read2_b64 v[76:79], v1 offset0:3 offset1:253
	ds_read_b64 v[144:145], v102 offset:13400
	v_add_u32_e32 v1, 0x560, v102
	ds_read2_b64 v[56:59], v1 offset0:3 offset1:253
	s_waitcnt lgkmcnt(0)
	v_mov_b32_e32 v148, v67
	v_mov_b32_e32 v150, v79
	;; [unrolled: 1-line block ×4, first 2 shown]
.LBB0_3:
	s_or_b64 exec, exec, s[2:3]
	v_lshrrev_b16_e32 v1, 1, v122
	v_mul_u32_u24_e32 v1, 0x147b, v1
	v_lshrrev_b32_e32 v81, 17, v1
	v_mul_lo_u16_e32 v1, 50, v81
	v_sub_u16_e32 v145, v122, v1
	v_mov_b32_e32 v1, 41
	v_mul_lo_u16_sdwa v1, v80, v1 dst_sel:DWORD dst_unused:UNUSED_PAD src0_sel:BYTE_0 src1_sel:DWORD
	v_lshrrev_b16_e32 v1, 11, v1
	v_mul_lo_u16_e32 v3, 50, v1
	v_sub_u16_e32 v3, v80, v3
	v_mul_lo_u16_e32 v140, 48, v145
	v_mov_b32_e32 v141, 0
	v_and_b32_e32 v3, 0xff, v3
	v_lshl_add_u64 v[36:37], s[10:11], 0, v[140:141]
	v_mad_u64_u32 v[154:155], s[2:3], v3, 48, s[10:11]
	global_load_dwordx4 v[16:19], v[36:37], off offset:400
	global_load_dwordx4 v[28:31], v[36:37], off offset:416
	s_waitcnt lgkmcnt(0)
	v_mov_b32_e32 v156, v73
	global_load_dwordx4 v[36:39], v[36:37], off offset:384
	s_nop 0
	global_load_dwordx4 v[44:47], v[154:155], off offset:416
	global_load_dwordx4 v[48:51], v[154:155], off offset:384
	;; [unrolled: 1-line block ×3, first 2 shown]
	v_mov_b32_e32 v154, v71
	v_mov_b32_e32 v155, v74
	;; [unrolled: 1-line block ×3, first 2 shown]
	s_mov_b32 s16, 0x3f5ff5aa
	s_mov_b32 s24, 0xbf08b237
	;; [unrolled: 1-line block ×7, first 2 shown]
	v_mul_u32_u24_e32 v1, 0x15e, v1
	s_barrier
	v_mov_b32_e32 v139, v138
	v_mov_b32_e32 v111, v110
	;; [unrolled: 1-line block ×27, first 2 shown]
	s_waitcnt vmcnt(5)
	v_pk_mul_f32 v[160:161], v[148:149], v[16:17] op_sel_hi:[0,1]
	v_pk_mul_f32 v[152:153], v[152:153], v[18:19] op_sel_hi:[0,1]
	s_waitcnt vmcnt(4)
	v_pk_mul_f32 v[162:163], v[150:151], v[28:29] op_sel_hi:[0,1]
	s_waitcnt vmcnt(3)
	v_pk_mul_f32 v[158:159], v[64:65], v[38:39] op_sel:[1,0]
	s_waitcnt vmcnt(2)
	v_pk_mul_f32 v[164:165], v[142:143], v[46:47] op_sel_hi:[1,0]
	v_mov_b32_e32 v140, v47
	s_waitcnt vmcnt(1)
	v_mul_f32_e32 v5, v73, v51
	s_waitcnt vmcnt(0)
	v_mul_f32_e32 v67, v75, v52
	v_mov_b32_e32 v73, v69
	v_mov_b32_e32 v166, v51
	;; [unrolled: 1-line block ×3, first 2 shown]
	v_mul_f32_e32 v7, v71, v45
	v_mov_b32_e32 v71, v75
	v_mov_b32_e32 v168, v45
	;; [unrolled: 1-line block ×3, first 2 shown]
	v_mul_f32_e32 v77, v68, v55
	v_pk_mul_f32 v[170:171], v[146:147], v[30:31] op_sel_hi:[0,1]
	v_pk_mul_f32 v[172:173], v[58:59], v[36:37] op_sel:[1,0]
	v_mul_f32_e32 v75, v74, v53
	v_pk_mul_f32 v[178:179], v[62:63], v[48:49] op_sel_hi:[1,0]
	v_pk_fma_f32 v[180:181], v[64:65], v[38:39], v[158:159] op_sel:[0,0,1] op_sel_hi:[1,1,0] neg_lo:[0,0,1] neg_hi:[0,0,1]
	v_pk_fma_f32 v[64:65], v[64:65], v[38:39], v[158:159] op_sel:[0,0,1] op_sel_hi:[0,1,0]
	v_pk_fma_f32 v[158:159], v[66:67], v[16:17], v[160:161] op_sel:[0,0,1] op_sel_hi:[1,1,0] neg_lo:[0,0,1] neg_hi:[0,0,1]
	v_pk_fma_f32 v[160:161], v[66:67], v[16:17], v[160:161] op_sel:[0,0,1] op_sel_hi:[0,1,0]
	;; [unrolled: 2-line block ×4, first 2 shown]
	v_pk_fma_f32 v[162:163], v[142:143], v[140:141], v[164:165] op_sel:[0,0,1] op_sel_hi:[1,0,0]
	v_pk_fma_f32 v[142:143], v[142:143], v[140:141], v[164:165] op_sel:[0,0,1] op_sel_hi:[1,0,0] neg_lo:[1,0,0] neg_hi:[1,0,0]
	v_fma_f32 v66, v72, v50, -v5
	v_pk_mul_f32 v[72:73], v[72:73], v[166:167]
	v_fma_f32 v74, v70, v44, -v7
	v_pk_mul_f32 v[70:71], v[70:71], v[168:169]
	v_pk_fma_f32 v[164:165], v[144:145], v[30:31], v[170:171] op_sel:[0,0,1] op_sel_hi:[1,1,0] neg_lo:[0,0,1] neg_hi:[0,0,1]
	v_pk_fma_f32 v[166:167], v[144:145], v[30:31], v[170:171] op_sel:[0,0,1] op_sel_hi:[0,1,0]
	v_pk_fma_f32 v[168:169], v[58:59], v[36:37], v[172:173] op_sel:[0,0,1] op_sel_hi:[1,1,0] neg_lo:[0,0,1] neg_hi:[0,0,1]
	v_pk_fma_f32 v[58:59], v[58:59], v[36:37], v[172:173] op_sel:[0,0,1] op_sel_hi:[0,1,0]
	v_mov_b32_e32 v174, v50
	v_mov_b32_e32 v175, v54
	;; [unrolled: 1-line block ×4, first 2 shown]
	v_pk_fma_f32 v[170:171], v[62:63], v[48:49], v[178:179] op_sel:[0,1,1] op_sel_hi:[1,1,0]
	v_pk_fma_f32 v[62:63], v[62:63], v[48:49], v[178:179] op_sel:[0,1,1] op_sel_hi:[1,1,0] neg_lo:[1,0,0] neg_hi:[1,0,0]
	v_mov_b32_e32 v169, v59
	v_mov_b32_e32 v181, v65
	;; [unrolled: 1-line block ×6, first 2 shown]
	v_mul_f32_e32 v69, v69, v54
	v_pk_fma_f32 v[58:59], v[156:157], v[174:175], v[72:73] neg_lo:[0,0,1] neg_hi:[0,0,1]
	v_pk_fma_f32 v[64:65], v[156:157], v[50:51], v[72:73]
	v_pk_fma_f32 v[72:73], v[154:155], v[176:177], v[70:71] neg_lo:[0,0,1] neg_hi:[0,0,1]
	v_pk_fma_f32 v[70:71], v[154:155], v[44:45], v[70:71]
	v_mov_b32_e32 v171, v63
	v_mov_b32_e32 v163, v143
	v_pk_add_f32 v[152:153], v[168:169], v[164:165] neg_lo:[0,1] neg_hi:[0,1]
	v_pk_add_f32 v[156:157], v[180:181], v[184:185] neg_lo:[0,1] neg_hi:[0,1]
	v_pk_add_f32 v[160:161], v[158:159], v[182:183]
	v_pk_add_f32 v[158:159], v[182:183], v[158:159] neg_lo:[0,1] neg_hi:[0,1]
	v_mov_b32_e32 v68, v63
	v_mov_b32_e32 v76, v143
	v_pk_add_f32 v[78:79], v[168:169], v[164:165]
	v_pk_add_f32 v[164:165], v[170:171], v[162:163]
	v_pk_add_f32 v[162:163], v[170:171], v[162:163] neg_lo:[0,1] neg_hi:[0,1]
	v_mov_b32_e32 v65, v59
	v_mov_b32_e32 v71, v73
	v_pk_add_f32 v[62:63], v[68:69], v[76:77]
	v_pk_add_f32 v[68:69], v[66:67], v[74:75]
	v_pk_add_f32 v[142:143], v[158:159], v[156:157] op_sel:[1,1] op_sel_hi:[0,0] neg_lo:[0,1] neg_hi:[0,1]
	v_pk_add_f32 v[170:171], v[156:157], v[152:153] op_sel:[1,1] op_sel_hi:[0,0] neg_lo:[0,1] neg_hi:[0,1]
	v_pk_add_f32 v[166:167], v[64:65], v[70:71]
	v_pk_add_f32 v[64:65], v[64:65], v[70:71] neg_lo:[0,1] neg_hi:[0,1]
	v_mov_b32_e32 v67, v66
	v_mov_b32_e32 v66, v63
	;; [unrolled: 1-line block ×4, first 2 shown]
	v_pk_mul_f32 v[168:169], v[142:143], s[24:25] op_sel_hi:[1,0]
	v_pk_add_f32 v[142:143], v[152:153], v[158:159] op_sel:[1,1] op_sel_hi:[0,0] neg_lo:[0,1] neg_hi:[0,1]
	v_pk_mul_f32 v[172:173], v[170:171], s[16:17] op_sel_hi:[1,0]
	v_pk_add_f32 v[66:67], v[66:67], v[70:71] neg_lo:[0,1] neg_hi:[0,1]
	v_pk_fma_f32 v[172:173], v[142:143], s[20:21], v[172:173] op_sel_hi:[1,0,1] neg_lo:[1,0,1] neg_hi:[1,0,1]
	v_pk_fma_f32 v[174:175], v[142:143], s[20:21], v[168:169] op_sel_hi:[1,0,1]
	v_mov_b32_e32 v142, v162
	v_mov_b32_e32 v143, v65
	v_pk_add_f32 v[176:177], v[142:143], v[66:67] neg_lo:[0,1] neg_hi:[0,1]
	v_mov_b32_e32 v142, v66
	v_mov_b32_e32 v143, v163
	v_mov_b32_e32 v70, v73
	v_mov_b32_e32 v71, v166
	v_mov_b32_e32 v58, v59
	v_mov_b32_e32 v59, v164
	v_pk_add_f32 v[142:143], v[142:143], v[64:65] neg_lo:[0,1] neg_hi:[0,1]
	s_mov_b32 s25, s20
	v_pk_add_f32 v[154:155], v[180:181], v[184:185]
	v_pk_add_f32 v[58:59], v[70:71], v[58:59]
	v_pk_add_f32 v[70:71], v[68:69], v[62:63]
	v_pk_mul_f32 v[178:179], v[142:143], s[24:25]
	v_pk_add_f32 v[142:143], v[64:65], v[66:67]
	v_mov_b32_e32 v69, v71
	v_pk_add_f32 v[72:73], v[160:161], v[154:155] neg_lo:[0,1] neg_hi:[0,1]
	v_pk_add_f32 v[180:181], v[142:143], v[162:163]
	v_mov_b32_e32 v142, v58
	v_mov_b32_e32 v143, v164
	;; [unrolled: 1-line block ×3, first 2 shown]
	v_pk_add_f32 v[70:71], v[70:71], v[58:59]
	v_pk_mul_f32 v[72:73], v[72:73], s[22:23] op_sel_hi:[1,0]
	v_pk_add_f32 v[74:75], v[78:79], v[160:161] neg_lo:[0,1] neg_hi:[0,1]
	v_pk_add_f32 v[142:143], v[142:143], v[68:69] neg_lo:[0,1] neg_hi:[0,1]
	v_mov_b32_e32 v59, v166
	s_mov_b32 s23, s18
	v_pk_add_f32 v[60:61], v[60:61], v[70:71]
	v_pk_mul_f32 v[76:77], v[74:75], s[18:19] op_sel_hi:[1,0]
	v_pk_fma_f32 v[74:75], v[74:75], s[18:19], v[72:73] op_sel_hi:[1,0,1]
	s_mov_b32 s21, s24
	v_pk_add_f32 v[58:59], v[62:63], v[58:59] neg_lo:[0,1] neg_hi:[0,1]
	v_pk_mul_f32 v[182:183], v[142:143], s[22:23]
	s_mov_b32 s19, s22
	v_pk_fma_f32 v[70:71], v[70:71], s[14:15], v[60:61] op_sel_hi:[1,0,1] neg_lo:[1,0,0] neg_hi:[1,0,0]
	v_pk_fma_f32 v[142:143], v[58:59], s[18:19], v[182:183]
	v_pk_fma_f32 v[184:185], v[176:177], s[20:21], v[178:179]
	v_pk_add_f32 v[142:143], v[142:143], v[70:71]
	v_pk_fma_f32 v[184:185], v[180:181], s[2:3], v[184:185] op_sel_hi:[1,0,1]
	v_mov_b32_e32 v65, v67
	v_pk_add_f32 v[186:187], v[142:143], v[184:185]
	v_pk_add_f32 v[184:185], v[142:143], v[184:185] neg_lo:[0,1] neg_hi:[0,1]
	v_add_lshl_u32 v142, v1, v3, 3
	v_mov_b32_e32 v188, v186
	v_mov_b32_e32 v189, v185
	ds_write2_b64 v142, v[60:61], v[188:189] offset1:50
	v_pk_add_f32 v[60:61], v[64:65], v[162:163] neg_lo:[0,1] neg_hi:[0,1]
	v_mov_b32_e32 v69, v166
	v_mov_b32_e32 v63, v164
	v_pk_mul_f32 v[64:65], v[176:177], s[20:21]
	v_pk_mul_f32 v[58:59], v[58:59], s[18:19]
	v_pk_add_f32 v[62:63], v[68:69], v[62:63] neg_lo:[0,1] neg_hi:[0,1]
	s_mov_b32 s22, 0x3f3bfb3b
	v_mov_b32_e32 v66, v58
	v_mov_b32_e32 v67, v183
	;; [unrolled: 1-line block ×6, first 2 shown]
	v_pk_fma_f32 v[66:67], v[62:63], s[22:23], v[66:67] op_sel_hi:[1,0,1] neg_lo:[1,0,1] neg_hi:[1,0,1]
	v_pk_fma_f32 v[68:69], v[60:61], s[16:17], v[68:69] op_sel_hi:[1,0,1] neg_lo:[1,0,1] neg_hi:[1,0,1]
	;; [unrolled: 1-line block ×4, first 2 shown]
	v_pk_add_f32 v[66:67], v[66:67], v[70:71]
	v_pk_fma_f32 v[68:69], v[180:181], s[2:3], v[68:69] op_sel_hi:[1,0,1]
	v_pk_add_f32 v[58:59], v[58:59], v[70:71]
	v_pk_fma_f32 v[60:61], v[180:181], s[2:3], v[60:61] op_sel_hi:[1,0,1]
	v_pk_add_f32 v[162:163], v[66:67], v[68:69]
	v_pk_add_f32 v[68:69], v[66:67], v[68:69] neg_lo:[0,1] neg_hi:[0,1]
	v_pk_add_f32 v[70:71], v[58:59], v[60:61] neg_lo:[0,1] neg_hi:[0,1]
	v_pk_add_f32 v[164:165], v[58:59], v[60:61]
	v_mov_b32_e32 v58, v162
	v_mov_b32_e32 v59, v69
	;; [unrolled: 1-line block ×4, first 2 shown]
	ds_write2_b64 v142, v[58:59], v[60:61] offset0:100 offset1:150
	v_pk_add_f32 v[58:59], v[154:155], v[78:79]
	v_mov_b32_e32 v65, v161
	v_mov_b32_e32 v64, v58
	;; [unrolled: 1-line block ×3, first 2 shown]
	v_pk_add_f32 v[62:63], v[158:159], v[156:157] op_sel:[1,1] op_sel_hi:[0,0]
	v_pk_add_f32 v[58:59], v[64:65], v[58:59]
	v_pk_add_f32 v[60:61], v[154:155], v[78:79] neg_lo:[0,1] neg_hi:[0,1]
	v_pk_add_f32 v[64:65], v[62:63], v[152:153] op_sel:[0,1] op_sel_hi:[1,0]
	v_pk_add_f32 v[56:57], v[56:57], v[58:59]
	v_pk_fma_f32 v[62:63], v[60:61], s[22:23], v[72:73] op_sel_hi:[1,0,1] neg_lo:[0,0,1] neg_hi:[0,0,1]
	v_pk_fma_f32 v[58:59], v[58:59], s[14:15], v[56:57] op_sel_hi:[1,0,1] neg_lo:[1,0,0] neg_hi:[1,0,0]
	v_pk_mul_f32 v[72:73], v[64:65], s[2:3] op_sel_hi:[1,0]
	v_pk_fma_f32 v[60:61], v[60:61], s[22:23], v[76:77] op_sel_hi:[1,0,1] neg_lo:[1,0,1] neg_hi:[1,0,1]
	v_pk_fma_f32 v[66:67], v[170:171], s[16:17], v[168:169] op_sel_hi:[1,0,1] neg_lo:[0,0,1] neg_hi:[0,0,1]
	v_mov_b32_e32 v76, v72
	v_mov_b32_e32 v77, v59
	;; [unrolled: 1-line block ×6, first 2 shown]
	v_pk_add_f32 v[154:155], v[76:77], v[174:175]
	v_mov_b32_e32 v79, v66
	v_mov_b32_e32 v75, v67
	v_pk_add_f32 v[76:77], v[60:61], v[58:59]
	v_pk_add_f32 v[60:61], v[62:63], v[58:59] op_sel:[0,1] op_sel_hi:[1,0]
	v_mov_b32_e32 v59, v73
	v_pk_add_f32 v[58:59], v[74:75], v[58:59]
	v_pk_add_f32 v[62:63], v[72:73], v[78:79] op_sel:[1,0] op_sel_hi:[0,1]
	v_mov_b32_e32 v66, v63
	v_mov_b32_e32 v67, v155
	;; [unrolled: 1-line block ×6, first 2 shown]
	v_pk_fma_f32 v[64:65], v[64:65], s[2:3], v[172:173] op_sel_hi:[1,0,1]
	v_pk_add_f32 v[72:73], v[66:67], v[72:73]
	v_pk_add_f32 v[66:67], v[154:155], v[58:59] neg_lo:[0,1] neg_hi:[0,1]
	ds_write2_b64 v142, v[164:165], v[68:69] offset0:200 offset1:250
	v_pk_add_f32 v[78:79], v[60:61], v[62:63]
	v_pk_add_f32 v[68:69], v[60:61], v[62:63] neg_lo:[0,1] neg_hi:[0,1]
	v_mov_b32_e32 v73, v67
	v_pk_add_f32 v[66:67], v[76:77], v[64:65] neg_lo:[0,1] neg_hi:[0,1]
	v_pk_add_f32 v[64:65], v[76:77], v[64:65]
	v_mov_b32_e32 v79, v69
	v_pk_add_f32 v[76:77], v[58:59], v[154:155] neg_lo:[0,1] neg_hi:[0,1]
	v_pk_add_f32 v[68:69], v[58:59], v[154:155]
	v_add_u32_e32 v152, 0x15e0, v107
	v_add_u32_e32 v150, 0x20d0, v107
	v_add_u32_e32 v148, 0x2bc0, v107
	v_mov_b32_e32 v5, v4
	v_mov_b32_e32 v7, v6
	;; [unrolled: 1-line block ×9, first 2 shown]
	s_movk_i32 s14, 0x15e
	ds_write_b64 v142, v[184:185] offset:2400
	s_and_saveexec_b64 s[2:3], vcc
	s_cbranch_execz .LBB0_5
; %bb.4:
	v_mad_legacy_u16 v59, v81, s14, v145
	v_lshlrev_b32_e32 v63, 3, v59
	v_mov_b32_e32 v61, v60
	v_mov_b32_e32 v59, v62
	v_pk_add_f32 v[58:59], v[60:61], v[58:59] neg_lo:[0,1] neg_hi:[0,1]
	v_mov_b32_e32 v65, v67
	v_mov_b32_e32 v69, v59
	ds_write2_b64 v63, v[56:57], v[68:69] offset1:50
	v_mov_b32_e32 v56, v79
	v_mov_b32_e32 v57, v77
	ds_write2_b64 v63, v[64:65], v[56:57] offset0:100 offset1:150
	ds_write2_b64 v63, v[72:73], v[74:75] offset0:200 offset1:250
	v_mov_b32_e32 v56, v76
	v_mov_b32_e32 v57, v78
	ds_write_b64 v63, v[56:57] offset:2400
.LBB0_5:
	s_or_b64 exec, exec, s[2:3]
	v_lshlrev_b32_e32 v56, 5, v80
	s_waitcnt lgkmcnt(0)
	s_barrier
	global_load_dwordx4 v[68:71], v56, s[10:11] offset:2784
	global_load_dwordx4 v[64:67], v56, s[10:11] offset:2800
	v_lshlrev_b32_e32 v56, 5, v122
	global_load_dwordx4 v[60:63], v56, s[10:11] offset:2784
	s_nop 0
	global_load_dwordx4 v[56:59], v56, s[10:11] offset:2800
	v_add_u32_e32 v122, 0xa00, v102
	v_add_u32_e32 v144, 0x2000, v102
	ds_read2_b64 v[158:161], v122 offset0:30 offset1:205
	ds_read2_b64 v[154:157], v102 offset1:175
	v_add_u32_e32 v143, 0x1400, v102
	v_add_u32_e32 v146, 0x2a00, v102
	ds_read2_b64 v[162:165], v144 offset0:26 offset1:201
	ds_read2_b64 v[166:169], v143 offset0:60 offset1:235
	;; [unrolled: 1-line block ×3, first 2 shown]
	s_mov_b32 s14, 0x3f737871
	s_mov_b32 s16, 0x3f167918
	;; [unrolled: 1-line block ×3, first 2 shown]
	v_lshlrev_b32_e32 v140, 3, v80
	v_lshl_add_u64 v[140:141], s[8:9], 0, v[140:141]
	s_movk_i32 s2, 0x3000
	s_waitcnt vmcnt(3) lgkmcnt(4)
	v_pk_mul_f32 v[174:175], v[158:159], v[68:69] op_sel:[0,1]
	v_mov_b32_e32 v176, v71
	s_waitcnt vmcnt(2) lgkmcnt(2)
	v_pk_mul_f32 v[178:179], v[162:163], v[64:65] op_sel:[0,1]
	v_mov_b32_e32 v180, v67
	s_waitcnt vmcnt(1)
	v_pk_mul_f32 v[182:183], v[160:161], v[60:61] op_sel:[0,1]
	v_mov_b32_e32 v184, v63
	s_waitcnt vmcnt(0)
	v_pk_mul_f32 v[186:187], v[164:165], v[56:57] op_sel:[0,1]
	v_mov_b32_e32 v188, v59
	v_pk_fma_f32 v[190:191], v[158:159], v[68:69], v[174:175] op_sel:[0,0,1] op_sel_hi:[1,1,0] neg_lo:[0,0,1] neg_hi:[0,0,1]
	v_pk_fma_f32 v[158:159], v[158:159], v[68:69], v[174:175] op_sel:[0,0,1] op_sel_hi:[1,0,0]
	s_waitcnt lgkmcnt(1)
	v_pk_mul_f32 v[174:175], v[166:167], v[176:177] op_sel_hi:[1,0]
	v_pk_fma_f32 v[176:177], v[162:163], v[64:65], v[178:179] op_sel:[0,0,1] op_sel_hi:[1,1,0] neg_lo:[0,0,1] neg_hi:[0,0,1]
	v_pk_fma_f32 v[162:163], v[162:163], v[64:65], v[178:179] op_sel:[0,0,1] op_sel_hi:[1,0,0]
	s_waitcnt lgkmcnt(0)
	v_pk_mul_f32 v[178:179], v[170:171], v[180:181] op_sel_hi:[1,0]
	v_pk_fma_f32 v[180:181], v[160:161], v[60:61], v[182:183] op_sel:[0,0,1] op_sel_hi:[1,1,0] neg_lo:[0,0,1] neg_hi:[0,0,1]
	v_pk_fma_f32 v[160:161], v[160:161], v[60:61], v[182:183] op_sel:[0,0,1] op_sel_hi:[1,0,0]
	v_pk_mul_f32 v[182:183], v[168:169], v[184:185] op_sel_hi:[1,0]
	v_pk_fma_f32 v[184:185], v[164:165], v[56:57], v[186:187] op_sel:[0,0,1] op_sel_hi:[1,1,0] neg_lo:[0,0,1] neg_hi:[0,0,1]
	v_pk_fma_f32 v[164:165], v[164:165], v[56:57], v[186:187] op_sel:[0,0,1] op_sel_hi:[1,0,0]
	v_pk_mul_f32 v[186:187], v[172:173], v[188:189] op_sel_hi:[1,0]
	v_mov_b32_e32 v191, v159
	v_pk_fma_f32 v[158:159], v[166:167], v[70:71], v[174:175] op_sel:[0,0,1] op_sel_hi:[1,1,0] neg_lo:[0,0,1] neg_hi:[0,0,1]
	v_pk_fma_f32 v[166:167], v[166:167], v[70:71], v[174:175] op_sel:[0,0,1] op_sel_hi:[1,0,0]
	v_mov_b32_e32 v177, v163
	v_pk_fma_f32 v[162:163], v[170:171], v[66:67], v[178:179] op_sel:[0,0,1] op_sel_hi:[1,1,0] neg_lo:[0,0,1] neg_hi:[0,0,1]
	v_pk_fma_f32 v[170:171], v[170:171], v[66:67], v[178:179] op_sel:[0,0,1] op_sel_hi:[1,0,0]
	;; [unrolled: 3-line block ×4, first 2 shown]
	v_mov_b32_e32 v159, v167
	v_mov_b32_e32 v163, v171
	v_pk_add_f32 v[166:167], v[154:155], v[190:191]
	v_mov_b32_e32 v161, v169
	v_pk_add_f32 v[168:169], v[156:157], v[180:181]
	v_mov_b32_e32 v165, v173
	v_pk_add_f32 v[166:167], v[166:167], v[158:159]
	v_pk_add_f32 v[168:169], v[168:169], v[160:161]
	v_pk_add_f32 v[170:171], v[158:159], v[176:177]
	v_pk_add_f32 v[172:173], v[190:191], v[162:163] neg_lo:[0,1] neg_hi:[0,1]
	v_pk_add_f32 v[174:175], v[158:159], v[176:177] neg_lo:[0,1] neg_hi:[0,1]
	v_pk_add_f32 v[186:187], v[190:191], v[162:163]
	v_pk_add_f32 v[178:179], v[190:191], v[158:159] neg_lo:[0,1] neg_hi:[0,1]
	v_pk_add_f32 v[182:183], v[162:163], v[176:177] neg_lo:[0,1] neg_hi:[0,1]
	;; [unrolled: 1-line block ×4, first 2 shown]
	v_pk_add_f32 v[166:167], v[166:167], v[176:177]
	v_pk_add_f32 v[168:169], v[168:169], v[184:185]
	v_pk_fma_f32 v[170:171], v[170:171], 0.5, v[154:155] op_sel_hi:[1,0,1] neg_lo:[1,0,0] neg_hi:[1,0,0]
	v_pk_mul_f32 v[176:177], v[172:173], s[14:15] op_sel_hi:[1,0]
	v_pk_mul_f32 v[190:191], v[174:175], s[16:17] op_sel_hi:[1,0]
	v_pk_fma_f32 v[154:155], v[186:187], 0.5, v[154:155] op_sel_hi:[1,0,1] neg_lo:[1,0,0] neg_hi:[1,0,0]
	v_pk_mul_f32 v[174:175], v[174:175], s[14:15] op_sel_hi:[1,0]
	v_pk_mul_f32 v[172:173], v[172:173], s[16:17] op_sel_hi:[1,0]
	v_pk_add_f32 v[162:163], v[166:167], v[162:163]
	v_pk_add_f32 v[166:167], v[168:169], v[164:165]
	v_pk_add_f32 v[168:169], v[170:171], v[176:177] op_sel:[0,1] op_sel_hi:[1,0]
	v_pk_add_f32 v[170:171], v[170:171], v[176:177] op_sel:[0,1] op_sel_hi:[1,0] neg_lo:[0,1] neg_hi:[0,1]
	v_pk_add_f32 v[176:177], v[154:155], v[174:175] op_sel:[0,1] op_sel_hi:[1,0] neg_lo:[0,1] neg_hi:[0,1]
	v_pk_add_f32 v[154:155], v[154:155], v[174:175] op_sel:[0,1] op_sel_hi:[1,0]
	v_pk_add_f32 v[158:159], v[158:159], v[188:189]
	v_pk_add_f32 v[154:155], v[154:155], v[172:173] op_sel:[0,1] op_sel_hi:[1,0] neg_lo:[0,1] neg_hi:[0,1]
	v_pk_add_f32 v[172:173], v[176:177], v[172:173] op_sel:[0,1] op_sel_hi:[1,0]
	v_pk_add_f32 v[170:171], v[170:171], v[190:191] op_sel:[0,1] op_sel_hi:[1,0] neg_lo:[0,1] neg_hi:[0,1]
	v_pk_add_f32 v[168:169], v[168:169], v[190:191] op_sel:[0,1] op_sel_hi:[1,0]
	v_mov_b32_e32 v175, v155
	v_mov_b32_e32 v155, v173
	v_pk_add_f32 v[178:179], v[178:179], v[182:183]
	v_mov_b32_e32 v182, v168
	v_mov_b32_e32 v183, v171
	;; [unrolled: 1-line block ×3, first 2 shown]
	v_pk_fma_f32 v[154:155], v[158:159], s[10:11], v[154:155] op_sel_hi:[1,0,1]
	v_mov_b32_e32 v171, v169
	v_pk_fma_f32 v[182:183], v[178:179], s[10:11], v[182:183] op_sel_hi:[1,0,1]
	v_pk_fma_f32 v[174:175], v[158:159], s[10:11], v[174:175] op_sel_hi:[1,0,1]
	ds_write_b64 v102, v[154:155] offset:8400
	v_pk_fma_f32 v[154:155], v[178:179], s[10:11], v[170:171] op_sel_hi:[1,0,1]
	ds_write_b64 v102, v[182:183] offset:2800
	ds_write_b64 v102, v[174:175] offset:5600
	;; [unrolled: 1-line block ×3, first 2 shown]
	ds_write2_b64 v102, v[162:163], v[166:167] offset1:175
	v_pk_add_f32 v[154:155], v[160:161], v[184:185]
	v_pk_add_f32 v[158:159], v[180:181], v[164:165] neg_lo:[0,1] neg_hi:[0,1]
	v_pk_fma_f32 v[154:155], v[154:155], 0.5, v[156:157] op_sel_hi:[1,0,1] neg_lo:[1,0,0] neg_hi:[1,0,0]
	v_pk_mul_f32 v[162:163], v[158:159], s[14:15] op_sel_hi:[1,0]
	v_pk_add_f32 v[166:167], v[160:161], v[184:185] neg_lo:[0,1] neg_hi:[0,1]
	v_pk_add_f32 v[170:171], v[180:181], v[160:161] neg_lo:[0,1] neg_hi:[0,1]
	;; [unrolled: 1-line block ×3, first 2 shown]
	v_pk_mul_f32 v[168:169], v[166:167], s[16:17] op_sel_hi:[1,0]
	v_pk_add_f32 v[170:171], v[170:171], v[172:173]
	v_pk_add_f32 v[172:173], v[154:155], v[162:163] op_sel:[0,1] op_sel_hi:[1,0]
	v_pk_add_f32 v[154:155], v[154:155], v[162:163] op_sel:[0,1] op_sel_hi:[1,0] neg_lo:[0,1] neg_hi:[0,1]
	v_pk_add_f32 v[162:163], v[172:173], v[168:169] op_sel:[0,1] op_sel_hi:[1,0]
	v_pk_add_f32 v[154:155], v[154:155], v[168:169] op_sel:[0,1] op_sel_hi:[1,0] neg_lo:[0,1] neg_hi:[0,1]
	v_mov_b32_e32 v168, v162
	v_mov_b32_e32 v169, v155
	v_pk_fma_f32 v[168:169], v[170:171], s[10:11], v[168:169] op_sel_hi:[1,0,1]
	ds_write_b64 v102, v[168:169] offset:4200
	v_pk_add_f32 v[168:169], v[180:181], v[164:165]
	v_pk_add_f32 v[160:161], v[160:161], v[180:181] neg_lo:[0,1] neg_hi:[0,1]
	v_pk_add_f32 v[164:165], v[184:185], v[164:165] neg_lo:[0,1] neg_hi:[0,1]
	v_pk_fma_f32 v[156:157], v[168:169], 0.5, v[156:157] op_sel_hi:[1,0,1] neg_lo:[1,0,0] neg_hi:[1,0,0]
	v_pk_add_f32 v[160:161], v[160:161], v[164:165]
	v_pk_mul_f32 v[164:165], v[166:167], s[14:15] op_sel_hi:[1,0]
	v_pk_mul_f32 v[158:159], v[158:159], s[16:17] op_sel_hi:[1,0]
	v_pk_add_f32 v[166:167], v[156:157], v[164:165] op_sel:[0,1] op_sel_hi:[1,0] neg_lo:[0,1] neg_hi:[0,1]
	v_pk_add_f32 v[156:157], v[156:157], v[164:165] op_sel:[0,1] op_sel_hi:[1,0]
	v_mov_b32_e32 v155, v163
	v_pk_add_f32 v[156:157], v[156:157], v[158:159] op_sel:[0,1] op_sel_hi:[1,0] neg_lo:[0,1] neg_hi:[0,1]
	v_pk_add_f32 v[158:159], v[166:167], v[158:159] op_sel:[0,1] op_sel_hi:[1,0]
	v_pk_fma_f32 v[154:155], v[170:171], s[10:11], v[154:155] op_sel_hi:[1,0,1]
	v_mov_b32_e32 v164, v158
	v_mov_b32_e32 v165, v157
	;; [unrolled: 1-line block ×3, first 2 shown]
	ds_write_b64 v102, v[154:155] offset:12600
	v_add_co_u32_e64 v154, s[2:3], s2, v140
	v_pk_fma_f32 v[164:165], v[160:161], s[10:11], v[164:165] op_sel_hi:[1,0,1]
	v_pk_fma_f32 v[156:157], v[160:161], s[10:11], v[156:157] op_sel_hi:[1,0,1]
	v_addc_co_u32_e64 v155, s[2:3], 0, v141, s[2:3]
	ds_write_b64 v102, v[164:165] offset:7000
	ds_write_b64 v102, v[156:157] offset:9800
	s_waitcnt lgkmcnt(0)
	s_barrier
	global_load_dwordx2 v[158:159], v[154:155], off offset:1712
	s_movk_i32 s2, 0x5000
	v_add_co_u32_e64 v154, s[2:3], s2, v140
	s_nop 1
	v_addc_co_u32_e64 v155, s[2:3], 0, v141, s[2:3]
	global_load_dwordx2 v[162:163], v[154:155], off offset:520
	s_mov_b64 s[2:3], 0x36b0
	v_lshl_add_u64 v[156:157], v[140:141], 0, s[2:3]
	global_load_dwordx2 v[164:165], v[156:157], off offset:1400
	global_load_dwordx2 v[166:167], v[154:155], off offset:1920
	;; [unrolled: 1-line block ×4, first 2 shown]
	s_movk_i32 s2, 0x4000
	v_add_co_u32_e64 v154, s[2:3], s2, v140
	s_nop 1
	v_addc_co_u32_e64 v155, s[2:3], 0, v141, s[2:3]
	global_load_dwordx2 v[172:173], v[154:155], off offset:1816
	s_movk_i32 s2, 0x6000
	v_add_co_u32_e64 v140, s[2:3], s2, v140
	s_nop 1
	v_addc_co_u32_e64 v141, s[2:3], 0, v141, s[2:3]
	global_load_dwordx2 v[174:175], v[140:141], off offset:624
	global_load_dwordx2 v[176:177], v[154:155], off offset:3216
	s_nop 0
	global_load_dwordx2 v[140:141], v[140:141], off offset:2024
	ds_read2_b64 v[154:157], v102 offset1:175
	s_waitcnt vmcnt(9) lgkmcnt(0)
	v_mul_f32_e32 v153, v155, v159
	v_mul_f32_e32 v161, v154, v159
	v_fma_f32 v160, v154, v158, -v153
	v_fmac_f32_e32 v161, v155, v158
	ds_write_b64 v102, v[160:161]
	ds_read2_b64 v[158:161], v143 offset0:60 offset1:235
	s_waitcnt vmcnt(7)
	v_mul_f32_e32 v181, v156, v165
	v_fmac_f32_e32 v181, v157, v164
	s_waitcnt lgkmcnt(0)
	v_mul_f32_e32 v153, v161, v163
	v_mul_f32_e32 v179, v160, v163
	v_fma_f32 v178, v160, v162, -v153
	v_fmac_f32_e32 v179, v161, v162
	ds_read2_b64 v[160:163], v144 offset0:26 offset1:201
	v_mul_f32_e32 v153, v157, v165
	v_fma_f32 v180, v156, v164, -v153
	ds_read2_b64 v[154:157], v122 offset0:30 offset1:205
	s_waitcnt vmcnt(6) lgkmcnt(1)
	v_mul_f32_e32 v153, v161, v167
	v_mul_f32_e32 v165, v160, v167
	v_fma_f32 v164, v160, v166, -v153
	v_fmac_f32_e32 v165, v161, v166
	v_add_u32_e32 v153, 0x1a00, v102
	ds_write2_b64 v153, v[178:179], v[164:165] offset0:43 offset1:218
	s_waitcnt vmcnt(5) lgkmcnt(1)
	v_mul_f32_e32 v153, v155, v169
	v_mul_f32_e32 v161, v154, v169
	v_fma_f32 v160, v154, v168, -v153
	v_fmac_f32_e32 v161, v155, v168
	v_add_u32_e32 v153, 0x400, v102
	ds_write2_b64 v153, v[180:181], v[160:161] offset0:47 offset1:222
	s_waitcnt vmcnt(4)
	v_mul_f32_e32 v153, v163, v171
	v_mul_f32_e32 v155, v162, v171
	v_fma_f32 v154, v162, v170, -v153
	v_fmac_f32_e32 v155, v163, v170
	ds_read2_b64 v[160:163], v146 offset0:56 offset1:231
	s_waitcnt vmcnt(3)
	v_mul_f32_e32 v153, v157, v173
	v_mul_f32_e32 v165, v156, v173
	v_fma_f32 v164, v156, v172, -v153
	v_fmac_f32_e32 v165, v157, v172
	s_waitcnt vmcnt(2) lgkmcnt(0)
	v_mul_f32_e32 v153, v161, v175
	v_mul_f32_e32 v157, v160, v175
	v_fma_f32 v156, v160, v174, -v153
	v_fmac_f32_e32 v157, v161, v174
	v_add_u32_e32 v153, 0x2400, v102
	ds_write2_b64 v153, v[154:155], v[156:157] offset0:73 offset1:248
	s_waitcnt vmcnt(1)
	v_mul_f32_e32 v153, v159, v177
	v_mul_f32_e32 v155, v158, v177
	v_fma_f32 v154, v158, v176, -v153
	v_fmac_f32_e32 v155, v159, v176
	v_add_u32_e32 v153, 0x1000, v102
	ds_write2_b64 v153, v[164:165], v[154:155] offset0:13 offset1:188
	s_waitcnt vmcnt(0)
	v_mul_f32_e32 v153, v163, v141
	v_mul_f32_e32 v155, v162, v141
	v_fma_f32 v154, v162, v140, -v153
	v_fmac_f32_e32 v155, v163, v140
	ds_write_b64 v102, v[154:155] offset:12600
	s_waitcnt lgkmcnt(0)
	s_barrier
	ds_read2_b64 v[154:157], v102 offset1:175
	ds_read2_b64 v[158:161], v144 offset0:26 offset1:201
	ds_read2_b64 v[162:165], v122 offset0:30 offset1:205
	;; [unrolled: 1-line block ×4, first 2 shown]
	s_waitcnt lgkmcnt(0)
	v_pk_add_f32 v[158:159], v[156:157], v[158:159] neg_lo:[0,1] neg_hi:[0,1]
	v_pk_add_f32 v[176:177], v[162:163], v[160:161] neg_lo:[0,1] neg_hi:[0,1]
	v_pk_fma_f32 v[156:157], v[156:157], 2.0, v[158:159] op_sel_hi:[1,0,1] neg_lo:[0,0,1] neg_hi:[0,0,1]
	v_pk_fma_f32 v[174:175], v[162:163], 2.0, v[176:177] op_sel_hi:[1,0,1] neg_lo:[0,0,1] neg_hi:[0,0,1]
	v_pk_add_f32 v[162:163], v[164:165], v[166:167] neg_lo:[0,1] neg_hi:[0,1]
	v_pk_add_f32 v[166:167], v[170:171], v[168:169] neg_lo:[0,1] neg_hi:[0,1]
	v_pk_fma_f32 v[160:161], v[164:165], 2.0, v[162:163] op_sel_hi:[1,0,1] neg_lo:[0,0,1] neg_hi:[0,0,1]
	v_pk_fma_f32 v[164:165], v[170:171], 2.0, v[166:167] op_sel_hi:[1,0,1] neg_lo:[0,0,1] neg_hi:[0,0,1]
	v_pk_add_f32 v[170:171], v[154:155], v[172:173] neg_lo:[0,1] neg_hi:[0,1]
	s_barrier
	v_pk_fma_f32 v[168:169], v[154:155], 2.0, v[170:171] op_sel_hi:[1,0,1] neg_lo:[0,0,1] neg_hi:[0,0,1]
	ds_write_b128 v103, v[168:171]
	ds_write_b128 v91, v[156:159]
	;; [unrolled: 1-line block ×5, first 2 shown]
	s_waitcnt lgkmcnt(0)
	s_barrier
	ds_read2_b64 v[152:155], v122 offset0:30 offset1:205
	ds_read2_b64 v[156:159], v102 offset1:175
	ds_read2_b64 v[160:163], v143 offset0:60 offset1:235
	ds_read2_b64 v[164:167], v144 offset0:26 offset1:201
	;; [unrolled: 1-line block ×3, first 2 shown]
	s_waitcnt lgkmcnt(4)
	v_pk_mul_f32 v[138:139], v[138:139], v[154:155]
	s_waitcnt lgkmcnt(0)
	v_pk_fma_f32 v[140:141], v[4:5], v[154:155], v[138:139] op_sel:[0,0,1] op_sel_hi:[1,1,0]
	v_pk_fma_f32 v[4:5], v[4:5], v[154:155], v[138:139] op_sel:[0,0,1] op_sel_hi:[1,1,0] neg_lo:[0,0,1] neg_hi:[0,0,1]
	s_barrier
	v_mov_b32_e32 v141, v5
	v_pk_mul_f32 v[4:5], v[110:111], v[162:163]
	s_nop 0
	v_pk_fma_f32 v[110:111], v[6:7], v[162:163], v[4:5] op_sel:[0,0,1] op_sel_hi:[1,1,0]
	v_pk_fma_f32 v[4:5], v[6:7], v[162:163], v[4:5] op_sel:[0,0,1] op_sel_hi:[1,1,0] neg_lo:[0,0,1] neg_hi:[0,0,1]
	s_nop 0
	v_mov_b32_e32 v111, v5
	v_pk_mul_f32 v[4:5], v[136:137], v[166:167]
	s_nop 0
	v_pk_fma_f32 v[6:7], v[12:13], v[166:167], v[4:5] op_sel:[0,0,1] op_sel_hi:[1,1,0]
	v_pk_fma_f32 v[4:5], v[12:13], v[166:167], v[4:5] op_sel:[0,0,1] op_sel_hi:[1,1,0] neg_lo:[0,0,1] neg_hi:[0,0,1]
	s_nop 0
	v_mov_b32_e32 v7, v5
	v_pk_mul_f32 v[4:5], v[112:113], v[170:171]
	s_nop 0
	v_pk_fma_f32 v[12:13], v[14:15], v[170:171], v[4:5] op_sel:[0,0,1] op_sel_hi:[1,1,0]
	v_pk_fma_f32 v[4:5], v[14:15], v[170:171], v[4:5] op_sel:[0,0,1] op_sel_hi:[1,1,0] neg_lo:[0,0,1] neg_hi:[0,0,1]
	v_pk_mul_f32 v[14:15], v[134:135], v[152:153]
	v_mov_b32_e32 v13, v5
	v_pk_fma_f32 v[112:113], v[0:1], v[152:153], v[14:15] op_sel:[0,0,1] op_sel_hi:[1,1,0]
	v_pk_fma_f32 v[0:1], v[0:1], v[152:153], v[14:15] op_sel:[0,0,1] op_sel_hi:[1,1,0] neg_lo:[0,0,1] neg_hi:[0,0,1]
	v_pk_add_f32 v[4:5], v[158:159], v[140:141]
	v_mov_b32_e32 v113, v1
	v_pk_mul_f32 v[0:1], v[106:107], v[160:161]
	v_pk_add_f32 v[4:5], v[4:5], v[110:111]
	v_pk_fma_f32 v[14:15], v[2:3], v[160:161], v[0:1] op_sel:[0,0,1] op_sel_hi:[1,1,0]
	v_pk_fma_f32 v[0:1], v[2:3], v[160:161], v[0:1] op_sel:[0,0,1] op_sel_hi:[1,1,0] neg_lo:[0,0,1] neg_hi:[0,0,1]
	v_pk_add_f32 v[4:5], v[4:5], v[6:7]
	v_mov_b32_e32 v15, v1
	v_pk_mul_f32 v[0:1], v[132:133], v[164:165]
	v_pk_add_f32 v[136:137], v[112:113], v[14:15] neg_lo:[0,1] neg_hi:[0,1]
	v_pk_fma_f32 v[2:3], v[8:9], v[164:165], v[0:1] op_sel:[0,0,1] op_sel_hi:[1,1,0]
	v_pk_fma_f32 v[0:1], v[8:9], v[164:165], v[0:1] op_sel:[0,0,1] op_sel_hi:[1,1,0] neg_lo:[0,0,1] neg_hi:[0,0,1]
	v_pk_add_f32 v[4:5], v[4:5], v[12:13]
	v_mov_b32_e32 v3, v1
	v_pk_mul_f32 v[0:1], v[108:109], v[168:169]
	v_pk_add_f32 v[132:133], v[14:15], v[2:3] neg_lo:[0,1] neg_hi:[0,1]
	v_pk_fma_f32 v[8:9], v[10:11], v[168:169], v[0:1] op_sel:[0,0,1] op_sel_hi:[1,1,0]
	v_pk_fma_f32 v[0:1], v[10:11], v[168:169], v[0:1] op_sel:[0,0,1] op_sel_hi:[1,1,0] neg_lo:[0,0,1] neg_hi:[0,0,1]
	v_pk_add_f32 v[10:11], v[14:15], v[2:3]
	v_mov_b32_e32 v9, v1
	v_pk_add_f32 v[106:107], v[112:113], v[8:9] neg_lo:[0,1] neg_hi:[0,1]
	v_pk_fma_f32 v[10:11], v[10:11], 0.5, v[156:157] op_sel_hi:[1,0,1] neg_lo:[1,0,0] neg_hi:[1,0,0]
	v_pk_mul_f32 v[108:109], v[106:107], s[14:15] op_sel_hi:[1,0]
	v_pk_add_f32 v[138:139], v[8:9], v[2:3] neg_lo:[0,1] neg_hi:[0,1]
	v_pk_add_f32 v[0:1], v[156:157], v[112:113]
	v_pk_mul_f32 v[134:135], v[132:133], s[16:17] op_sel_hi:[1,0]
	v_pk_add_f32 v[136:137], v[136:137], v[138:139]
	v_pk_add_f32 v[138:139], v[10:11], v[108:109] op_sel:[0,1] op_sel_hi:[1,0] neg_lo:[0,1] neg_hi:[0,1]
	v_pk_add_f32 v[10:11], v[10:11], v[108:109] op_sel:[0,1] op_sel_hi:[1,0]
	v_pk_add_f32 v[0:1], v[0:1], v[14:15]
	v_pk_add_f32 v[10:11], v[10:11], v[134:135] op_sel:[0,1] op_sel_hi:[1,0]
	v_pk_add_f32 v[108:109], v[138:139], v[134:135] op_sel:[0,1] op_sel_hi:[1,0] neg_lo:[0,1] neg_hi:[0,1]
	v_pk_add_f32 v[0:1], v[0:1], v[2:3]
	v_mov_b32_e32 v134, v108
	v_mov_b32_e32 v135, v11
	v_pk_add_f32 v[0:1], v[0:1], v[8:9]
	v_pk_fma_f32 v[134:135], v[136:137], s[10:11], v[134:135] op_sel_hi:[1,0,1]
	ds_write2_b64 v123, v[0:1], v[134:135] offset1:2
	v_pk_add_f32 v[0:1], v[112:113], v[8:9]
	v_pk_add_f32 v[14:15], v[14:15], v[112:113] neg_lo:[0,1] neg_hi:[0,1]
	v_pk_fma_f32 v[0:1], v[0:1], 0.5, v[156:157] op_sel_hi:[1,0,1] neg_lo:[1,0,0] neg_hi:[1,0,0]
	v_pk_add_f32 v[2:3], v[2:3], v[8:9] neg_lo:[0,1] neg_hi:[0,1]
	v_pk_mul_f32 v[8:9], v[132:133], s[14:15] op_sel_hi:[1,0]
	v_pk_add_f32 v[2:3], v[14:15], v[2:3]
	v_pk_mul_f32 v[14:15], v[106:107], s[16:17] op_sel_hi:[1,0]
	v_pk_add_f32 v[106:107], v[0:1], v[8:9] op_sel:[0,1] op_sel_hi:[1,0]
	v_pk_add_f32 v[0:1], v[0:1], v[8:9] op_sel:[0,1] op_sel_hi:[1,0] neg_lo:[0,1] neg_hi:[0,1]
	v_pk_add_f32 v[8:9], v[106:107], v[14:15] op_sel:[0,1] op_sel_hi:[1,0] neg_lo:[0,1] neg_hi:[0,1]
	v_pk_add_f32 v[0:1], v[0:1], v[14:15] op_sel:[0,1] op_sel_hi:[1,0]
	v_mov_b32_e32 v14, v8
	v_mov_b32_e32 v15, v1
	;; [unrolled: 1-line block ×3, first 2 shown]
	v_pk_fma_f32 v[14:15], v[2:3], s[10:11], v[14:15] op_sel_hi:[1,0,1]
	v_pk_fma_f32 v[0:1], v[2:3], s[10:11], v[0:1] op_sel_hi:[1,0,1]
	v_mov_b32_e32 v11, v109
	ds_write2_b64 v123, v[14:15], v[0:1] offset0:4 offset1:6
	v_pk_fma_f32 v[0:1], v[136:137], s[10:11], v[10:11] op_sel_hi:[1,0,1]
	ds_write_b64 v123, v[0:1] offset:64
	v_pk_add_f32 v[0:1], v[110:111], v[6:7]
	v_pk_add_f32 v[2:3], v[140:141], v[12:13] neg_lo:[0,1] neg_hi:[0,1]
	v_pk_fma_f32 v[0:1], v[0:1], 0.5, v[158:159] op_sel_hi:[1,0,1] neg_lo:[1,0,0] neg_hi:[1,0,0]
	v_pk_mul_f32 v[8:9], v[2:3], s[14:15] op_sel_hi:[1,0]
	v_pk_add_f32 v[10:11], v[110:111], v[6:7] neg_lo:[0,1] neg_hi:[0,1]
	v_pk_add_f32 v[106:107], v[140:141], v[110:111] neg_lo:[0,1] neg_hi:[0,1]
	;; [unrolled: 1-line block ×3, first 2 shown]
	v_pk_mul_f32 v[14:15], v[10:11], s[16:17] op_sel_hi:[1,0]
	v_pk_add_f32 v[106:107], v[106:107], v[108:109]
	v_pk_add_f32 v[108:109], v[0:1], v[8:9] op_sel:[0,1] op_sel_hi:[1,0] neg_lo:[0,1] neg_hi:[0,1]
	v_pk_add_f32 v[0:1], v[0:1], v[8:9] op_sel:[0,1] op_sel_hi:[1,0]
	v_pk_add_f32 v[8:9], v[108:109], v[14:15] op_sel:[0,1] op_sel_hi:[1,0] neg_lo:[0,1] neg_hi:[0,1]
	v_pk_add_f32 v[0:1], v[0:1], v[14:15] op_sel:[0,1] op_sel_hi:[1,0]
	v_mov_b32_e32 v14, v8
	v_mov_b32_e32 v15, v1
	v_pk_fma_f32 v[14:15], v[106:107], s[10:11], v[14:15] op_sel_hi:[1,0,1]
	ds_write2_b64 v147, v[4:5], v[14:15] offset1:2
	v_pk_add_f32 v[4:5], v[140:141], v[12:13]
	v_pk_mul_f32 v[10:11], v[10:11], s[14:15] op_sel_hi:[1,0]
	v_pk_fma_f32 v[4:5], v[4:5], 0.5, v[158:159] op_sel_hi:[1,0,1] neg_lo:[1,0,0] neg_hi:[1,0,0]
	v_pk_add_f32 v[6:7], v[6:7], v[12:13] neg_lo:[0,1] neg_hi:[0,1]
	v_pk_mul_f32 v[2:3], v[2:3], s[16:17] op_sel_hi:[1,0]
	v_pk_add_f32 v[12:13], v[4:5], v[10:11] op_sel:[0,1] op_sel_hi:[1,0]
	v_pk_add_f32 v[4:5], v[4:5], v[10:11] op_sel:[0,1] op_sel_hi:[1,0] neg_lo:[0,1] neg_hi:[0,1]
	v_pk_add_f32 v[14:15], v[110:111], v[140:141] neg_lo:[0,1] neg_hi:[0,1]
	v_pk_add_f32 v[4:5], v[4:5], v[2:3] op_sel:[0,1] op_sel_hi:[1,0]
	v_pk_add_f32 v[2:3], v[12:13], v[2:3] op_sel:[0,1] op_sel_hi:[1,0] neg_lo:[0,1] neg_hi:[0,1]
	v_pk_add_f32 v[6:7], v[14:15], v[6:7]
	v_mov_b32_e32 v10, v2
	v_mov_b32_e32 v11, v5
	;; [unrolled: 1-line block ×4, first 2 shown]
	v_pk_fma_f32 v[10:11], v[6:7], s[10:11], v[10:11] op_sel_hi:[1,0,1]
	v_pk_fma_f32 v[2:3], v[6:7], s[10:11], v[4:5] op_sel_hi:[1,0,1]
	;; [unrolled: 1-line block ×3, first 2 shown]
	ds_write2_b64 v147, v[10:11], v[2:3] offset0:4 offset1:6
	ds_write_b64 v147, v[0:1] offset:64
	s_waitcnt lgkmcnt(0)
	s_barrier
	ds_read2_b64 v[2:5], v122 offset0:30 offset1:205
	ds_read2_b64 v[6:9], v143 offset0:60 offset1:235
	;; [unrolled: 1-line block ×4, first 2 shown]
	ds_read2_b64 v[110:113], v102 offset1:175
	s_waitcnt lgkmcnt(4)
	v_pk_mul_f32 v[0:1], v[130:131], v[4:5]
	s_waitcnt lgkmcnt(0)
	v_pk_fma_f32 v[14:15], v[20:21], v[4:5], v[0:1] op_sel:[0,0,1] op_sel_hi:[1,1,0]
	v_pk_fma_f32 v[0:1], v[20:21], v[4:5], v[0:1] op_sel:[0,0,1] op_sel_hi:[1,1,0] neg_lo:[0,0,1] neg_hi:[0,0,1]
	s_barrier
	v_mov_b32_e32 v15, v1
	v_pk_mul_f32 v[0:1], v[120:121], v[8:9]
	s_nop 0
	v_pk_fma_f32 v[20:21], v[22:23], v[8:9], v[0:1] op_sel:[0,0,1] op_sel_hi:[1,1,0]
	v_pk_fma_f32 v[0:1], v[22:23], v[8:9], v[0:1] op_sel:[0,0,1] op_sel_hi:[1,1,0] neg_lo:[0,0,1] neg_hi:[0,0,1]
	s_nop 0
	v_mov_b32_e32 v21, v1
	v_pk_mul_f32 v[0:1], v[128:129], v[12:13]
	s_nop 0
	v_pk_fma_f32 v[8:9], v[24:25], v[12:13], v[0:1] op_sel:[0,0,1] op_sel_hi:[1,1,0]
	v_pk_fma_f32 v[0:1], v[24:25], v[12:13], v[0:1] op_sel:[0,0,1] op_sel_hi:[1,1,0] neg_lo:[0,0,1] neg_hi:[0,0,1]
	s_nop 0
	v_mov_b32_e32 v9, v1
	v_pk_mul_f32 v[0:1], v[118:119], v[108:109]
	v_pk_add_f32 v[22:23], v[20:21], v[8:9] neg_lo:[0,1] neg_hi:[0,1]
	v_pk_fma_f32 v[12:13], v[26:27], v[108:109], v[0:1] op_sel:[0,0,1] op_sel_hi:[1,1,0]
	v_pk_fma_f32 v[0:1], v[26:27], v[108:109], v[0:1] op_sel:[0,0,1] op_sel_hi:[1,1,0] neg_lo:[0,0,1] neg_hi:[0,0,1]
	v_pk_add_f32 v[108:109], v[14:15], v[20:21] neg_lo:[0,1] neg_hi:[0,1]
	v_mov_b32_e32 v13, v1
	v_pk_add_f32 v[4:5], v[14:15], v[12:13]
	v_pk_add_f32 v[26:27], v[8:9], v[12:13] neg_lo:[0,1] neg_hi:[0,1]
	v_pk_fma_f32 v[24:25], v[4:5], 0.5, v[112:113] op_sel_hi:[1,0,1] neg_lo:[1,0,0] neg_hi:[1,0,0]
	v_pk_add_f32 v[4:5], v[20:21], v[14:15] neg_lo:[0,1] neg_hi:[0,1]
	v_pk_add_f32 v[0:1], v[14:15], v[12:13] neg_lo:[0,1] neg_hi:[0,1]
	v_pk_add_f32 v[26:27], v[4:5], v[26:27]
	v_pk_add_f32 v[4:5], v[20:21], v[8:9]
	v_pk_add_f32 v[118:119], v[12:13], v[8:9] neg_lo:[0,1] neg_hi:[0,1]
	v_pk_fma_f32 v[4:5], v[4:5], 0.5, v[112:113] op_sel_hi:[1,0,1] neg_lo:[1,0,0] neg_hi:[1,0,0]
	v_pk_add_f32 v[108:109], v[108:109], v[118:119]
	v_pk_fma_f32 v[118:119], v[0:1], s[14:15], v[4:5] op_sel:[1,0,0] op_sel_hi:[0,0,1]
	v_pk_fma_f32 v[4:5], v[0:1], s[14:15], v[4:5] op_sel:[1,0,0] op_sel_hi:[0,0,1] neg_lo:[1,0,0] neg_hi:[1,0,0]
	v_pk_fma_f32 v[122:123], v[22:23], s[14:15], v[24:25] op_sel:[1,0,0] op_sel_hi:[0,0,1]
	v_pk_fma_f32 v[120:121], v[22:23], s[16:17], v[4:5] op_sel:[1,0,0] op_sel_hi:[0,0,1] neg_lo:[1,0,0] neg_hi:[1,0,0]
	;; [unrolled: 2-line block ×3, first 2 shown]
	v_pk_fma_f32 v[24:25], v[0:1], s[16:17], v[122:123] op_sel:[1,0,0] op_sel_hi:[0,0,1] neg_lo:[1,0,0] neg_hi:[1,0,0]
	v_pk_mul_f32 v[122:123], v[126:127], v[2:3]
	v_mov_b32_e32 v5, v121
	v_pk_fma_f32 v[126:127], v[32:33], v[2:3], v[122:123] op_sel:[0,0,1] op_sel_hi:[1,1,0]
	v_pk_fma_f32 v[2:3], v[32:33], v[2:3], v[122:123] op_sel:[0,0,1] op_sel_hi:[1,1,0] neg_lo:[0,0,1] neg_hi:[0,0,1]
	v_pk_fma_f32 v[22:23], v[0:1], s[16:17], v[22:23] op_sel:[1,0,0] op_sel_hi:[0,0,1]
	v_mov_b32_e32 v127, v3
	v_pk_mul_f32 v[2:3], v[114:115], v[6:7]
	v_mov_b32_e32 v121, v119
	v_pk_fma_f32 v[32:33], v[34:35], v[6:7], v[2:3] op_sel:[0,0,1] op_sel_hi:[1,1,0]
	v_pk_fma_f32 v[2:3], v[34:35], v[6:7], v[2:3] op_sel:[0,0,1] op_sel_hi:[1,1,0] neg_lo:[0,0,1] neg_hi:[0,0,1]
	v_mov_b32_e32 v0, v24
	v_mov_b32_e32 v33, v3
	v_pk_mul_f32 v[2:3], v[124:125], v[10:11]
	v_mov_b32_e32 v1, v23
	v_pk_fma_f32 v[6:7], v[40:41], v[10:11], v[2:3] op_sel:[0,0,1] op_sel_hi:[1,1,0]
	v_pk_fma_f32 v[2:3], v[40:41], v[10:11], v[2:3] op_sel:[0,0,1] op_sel_hi:[1,1,0] neg_lo:[0,0,1] neg_hi:[0,0,1]
	v_mov_b32_e32 v23, v25
	v_mov_b32_e32 v7, v3
	v_pk_mul_f32 v[2:3], v[116:117], v[106:107]
	v_pk_add_f32 v[34:35], v[32:33], v[6:7]
	v_pk_fma_f32 v[10:11], v[42:43], v[106:107], v[2:3] op_sel:[0,0,1] op_sel_hi:[1,1,0]
	v_pk_fma_f32 v[2:3], v[42:43], v[106:107], v[2:3] op_sel:[0,0,1] op_sel_hi:[1,1,0] neg_lo:[0,0,1] neg_hi:[0,0,1]
	v_pk_fma_f32 v[34:35], v[34:35], 0.5, v[110:111] op_sel_hi:[1,0,1] neg_lo:[1,0,0] neg_hi:[1,0,0]
	v_mov_b32_e32 v11, v3
	v_pk_add_f32 v[40:41], v[126:127], v[10:11] neg_lo:[0,1] neg_hi:[0,1]
	v_pk_add_f32 v[106:107], v[32:33], v[6:7] neg_lo:[0,1] neg_hi:[0,1]
	v_pk_mul_f32 v[42:43], v[40:41], s[14:15] op_sel_hi:[1,0]
	v_pk_add_f32 v[116:117], v[126:127], v[32:33] neg_lo:[0,1] neg_hi:[0,1]
	v_pk_add_f32 v[122:123], v[10:11], v[6:7] neg_lo:[0,1] neg_hi:[0,1]
	v_pk_add_f32 v[2:3], v[110:111], v[126:127]
	v_pk_mul_f32 v[114:115], v[106:107], s[16:17] op_sel_hi:[1,0]
	v_pk_add_f32 v[116:117], v[116:117], v[122:123]
	v_pk_add_f32 v[122:123], v[34:35], v[42:43] op_sel:[0,1] op_sel_hi:[1,0] neg_lo:[0,1] neg_hi:[0,1]
	v_pk_add_f32 v[34:35], v[34:35], v[42:43] op_sel:[0,1] op_sel_hi:[1,0]
	v_pk_add_f32 v[2:3], v[2:3], v[32:33]
	v_pk_add_f32 v[34:35], v[34:35], v[114:115] op_sel:[0,1] op_sel_hi:[1,0]
	v_pk_add_f32 v[42:43], v[122:123], v[114:115] op_sel:[0,1] op_sel_hi:[1,0] neg_lo:[0,1] neg_hi:[0,1]
	v_pk_add_f32 v[2:3], v[2:3], v[6:7]
	v_mov_b32_e32 v114, v42
	v_mov_b32_e32 v115, v35
	v_pk_add_f32 v[2:3], v[2:3], v[10:11]
	v_pk_fma_f32 v[114:115], v[116:117], s[10:11], v[114:115] op_sel_hi:[1,0,1]
	ds_write2_b64 v149, v[2:3], v[114:115] offset1:10
	v_pk_add_f32 v[2:3], v[126:127], v[10:11]
	v_pk_add_f32 v[32:33], v[32:33], v[126:127] neg_lo:[0,1] neg_hi:[0,1]
	v_pk_fma_f32 v[2:3], v[2:3], 0.5, v[110:111] op_sel_hi:[1,0,1] neg_lo:[1,0,0] neg_hi:[1,0,0]
	v_pk_add_f32 v[6:7], v[6:7], v[10:11] neg_lo:[0,1] neg_hi:[0,1]
	v_pk_mul_f32 v[10:11], v[106:107], s[14:15] op_sel_hi:[1,0]
	v_pk_add_f32 v[6:7], v[32:33], v[6:7]
	v_pk_mul_f32 v[32:33], v[40:41], s[16:17] op_sel_hi:[1,0]
	v_pk_add_f32 v[40:41], v[2:3], v[10:11] op_sel:[0,1] op_sel_hi:[1,0]
	v_pk_add_f32 v[2:3], v[2:3], v[10:11] op_sel:[0,1] op_sel_hi:[1,0] neg_lo:[0,1] neg_hi:[0,1]
	v_pk_add_f32 v[10:11], v[40:41], v[32:33] op_sel:[0,1] op_sel_hi:[1,0] neg_lo:[0,1] neg_hi:[0,1]
	v_pk_add_f32 v[2:3], v[2:3], v[32:33] op_sel:[0,1] op_sel_hi:[1,0]
	v_mov_b32_e32 v32, v10
	v_mov_b32_e32 v33, v3
	;; [unrolled: 1-line block ×3, first 2 shown]
	v_pk_fma_f32 v[32:33], v[6:7], s[10:11], v[32:33] op_sel_hi:[1,0,1]
	v_pk_fma_f32 v[2:3], v[6:7], s[10:11], v[2:3] op_sel_hi:[1,0,1]
	v_mov_b32_e32 v35, v43
	ds_write2_b64 v149, v[32:33], v[2:3] offset0:20 offset1:30
	v_pk_fma_f32 v[2:3], v[116:117], s[10:11], v[34:35] op_sel_hi:[1,0,1]
	ds_write_b64 v149, v[2:3] offset:320
	v_pk_add_f32 v[2:3], v[112:113], v[14:15]
	v_pk_fma_f32 v[6:7], v[108:109], s[10:11], v[120:121] op_sel_hi:[1,0,1]
	v_pk_add_f32 v[2:3], v[2:3], v[20:21]
	v_mov_b32_e32 v4, v118
	v_pk_add_f32 v[2:3], v[2:3], v[8:9]
	v_pk_fma_f32 v[0:1], v[26:27], s[10:11], v[0:1] op_sel_hi:[1,0,1]
	v_pk_add_f32 v[2:3], v[2:3], v[12:13]
	ds_write2_b64 v151, v[2:3], v[6:7] offset1:10
	v_pk_fma_f32 v[2:3], v[26:27], s[10:11], v[22:23] op_sel_hi:[1,0,1]
	v_add_u32_e32 v6, 0xf80, v102
	v_pk_fma_f32 v[4:5], v[108:109], s[10:11], v[4:5] op_sel_hi:[1,0,1]
	ds_write2_b64 v151, v[0:1], v[2:3] offset0:20 offset1:30
	ds_write_b64 v151, v[4:5] offset:320
	s_waitcnt lgkmcnt(0)
	s_barrier
	ds_read2_b64 v[20:23], v6 offset0:4 offset1:254
	v_add_u32_e32 v6, 0x1f40, v102
	ds_read2_b64 v[8:11], v102 offset1:250
	ds_read2_b64 v[12:15], v6 offset1:250
	ds_read_b64 v[110:111], v102 offset:12000
                                        ; implicit-def: $vgpr108_vgpr109
                                        ; implicit-def: $vgpr106_vgpr107
	s_and_saveexec_b64 s[2:3], s[0:1]
	s_xor_b64 s[0:1], exec, s[2:3]
; %bb.6:
	v_mov_b32_e32 v106, v2
	v_mov_b32_e32 v107, v73
	;; [unrolled: 1-line block ×4, first 2 shown]
; %bb.7:
	s_andn2_saveexec_b64 s[0:1], s[0:1]
	s_cbranch_execz .LBB0_9
; %bb.8:
	v_add_u32_e32 v0, 0x560, v102
	v_add_u32_e32 v1, 0x1500, v102
	;; [unrolled: 1-line block ×3, first 2 shown]
	ds_read_b64 v[24:25], v102 offset:13400
	ds_read2_b64 v[4:7], v1 offset0:3 offset1:253
	ds_read2_b64 v[0:3], v0 offset0:3 offset1:253
	ds_read2_b64 v[72:75], v26 offset0:3 offset1:253
	s_waitcnt lgkmcnt(3)
	v_mov_b32_e32 v76, v24
	s_waitcnt lgkmcnt(2)
	v_mov_b32_e32 v77, v7
	v_mov_b32_e32 v78, v25
	;; [unrolled: 1-line block ×3, first 2 shown]
	s_waitcnt lgkmcnt(1)
	v_mov_b32_e32 v106, v2
	s_waitcnt lgkmcnt(0)
	v_mov_b32_e32 v107, v73
	v_mov_b32_e32 v108, v3
	;; [unrolled: 1-line block ×3, first 2 shown]
.LBB0_9:
	s_or_b64 exec, exec, s[0:1]
	s_waitcnt lgkmcnt(3)
	v_pk_mul_f32 v[122:123], v[52:53], v[22:23] op_sel:[0,1] op_sel_hi:[1,0]
	s_waitcnt lgkmcnt(2)
	v_pk_mul_f32 v[72:73], v[48:49], v[10:11] op_sel_hi:[1,0]
	v_mov_b32_e32 v112, v11
	v_mov_b32_e32 v120, v53
	;; [unrolled: 1-line block ×3, first 2 shown]
	s_waitcnt lgkmcnt(1)
	v_pk_mul_f32 v[124:125], v[54:55], v[12:13] op_sel:[0,1] op_sel_hi:[1,0]
	v_pk_mul_f32 v[114:115], v[50:51], v[20:21] op_sel_hi:[1,0]
	v_mov_b32_e32 v116, v21
	v_pk_mul_f32 v[118:119], v[52:53], v[22:23]
	v_pk_mul_f32 v[120:121], v[120:121], v[22:23] op_sel:[0,1] op_sel_hi:[1,0]
	v_pk_fma_f32 v[22:23], v[52:53], v[22:23], v[122:123] op_sel:[0,1,0] op_sel_hi:[1,0,1] neg_lo:[0,0,1] neg_hi:[0,0,1]
	v_mov_b32_e32 v122, v55
	v_mov_b32_e32 v124, v125
	v_pk_fma_f32 v[112:113], v[48:49], v[112:113], v[72:73] op_sel:[0,0,1] op_sel_hi:[1,1,0] neg_lo:[0,0,1] neg_hi:[0,0,1]
	v_pk_fma_f32 v[10:11], v[48:49], v[10:11], v[72:73] op_sel:[0,1,1] op_sel_hi:[1,1,0]
	v_pk_mul_f32 v[52:53], v[54:55], v[12:13]
	v_pk_mul_f32 v[122:123], v[122:123], v[12:13] op_sel:[0,1] op_sel_hi:[1,0]
	v_pk_fma_f32 v[12:13], v[54:55], v[12:13], v[124:125] op_sel:[0,1,0] op_sel_hi:[1,0,1] neg_lo:[0,0,1] neg_hi:[0,0,1]
	v_pk_mul_f32 v[54:55], v[44:45], v[14:15] op_sel_hi:[1,0]
	v_mov_b32_e32 v124, v15
	v_mov_b32_e32 v113, v11
	v_pk_fma_f32 v[10:11], v[50:51], v[116:117], v[114:115] op_sel:[0,0,1] op_sel_hi:[1,1,0] neg_lo:[0,0,1] neg_hi:[0,0,1]
	v_pk_fma_f32 v[20:21], v[50:51], v[20:21], v[114:115] op_sel:[0,1,1] op_sel_hi:[1,1,0]
	s_waitcnt lgkmcnt(0)
	v_pk_mul_f32 v[126:127], v[46:47], v[110:111] op_sel_hi:[1,0]
	v_mov_b32_e32 v128, v111
	v_mov_b32_e32 v11, v21
	v_pk_fma_f32 v[20:21], v[44:45], v[124:125], v[54:55] op_sel:[0,0,1] op_sel_hi:[1,1,0] neg_lo:[0,0,1] neg_hi:[0,0,1]
	v_pk_fma_f32 v[14:15], v[44:45], v[14:15], v[54:55] op_sel:[0,1,1] op_sel_hi:[1,1,0]
	v_pk_fma_f32 v[44:45], v[46:47], v[110:111], v[126:127] op_sel:[0,1,1] op_sel_hi:[1,1,0]
	v_mov_b32_e32 v21, v15
	v_pk_fma_f32 v[14:15], v[46:47], v[128:129], v[126:127] op_sel:[0,0,1] op_sel_hi:[1,1,0] neg_lo:[0,0,1] neg_hi:[0,0,1]
	v_mov_b32_e32 v53, v112
	v_mov_b32_e32 v15, v45
	;; [unrolled: 1-line block ×5, first 2 shown]
	v_pk_add_f32 v[44:45], v[112:113], v[14:15]
	v_pk_add_f32 v[46:47], v[112:113], v[14:15] neg_lo:[0,1] neg_hi:[0,1]
	v_pk_add_f32 v[48:49], v[10:11], v[20:21]
	v_pk_add_f32 v[50:51], v[10:11], v[20:21] neg_lo:[0,1] neg_hi:[0,1]
	v_pk_add_f32 v[14:15], v[52:53], v[122:123]
	v_pk_add_f32 v[10:11], v[118:119], v[120:121]
	v_mov_b32_e32 v13, v14
	v_mov_b32_e32 v23, v10
	v_pk_add_f32 v[20:21], v[12:13], v[22:23] neg_lo:[0,1] neg_hi:[0,1]
	v_mov_b32_e32 v110, v49
	v_mov_b32_e32 v111, v22
	;; [unrolled: 1-line block ×4, first 2 shown]
	v_pk_add_f32 v[12:13], v[110:111], v[22:23]
	v_pk_add_f32 v[22:23], v[10:11], v[14:15]
	v_mov_b32_e32 v52, v20
	v_mov_b32_e32 v53, v47
	;; [unrolled: 1-line block ×4, first 2 shown]
	s_mov_b32 s2, 0x3f08b237
	v_mov_b32_e32 v14, v22
	v_mov_b32_e32 v111, v13
	s_mov_b32 s20, 0x3d64c772
	v_pk_add_f32 v[52:53], v[52:53], v[54:55] neg_lo:[0,1] neg_hi:[0,1]
	s_mov_b32 s3, 0xbeae86e6
	v_mov_b32_e32 v54, v46
	v_mov_b32_e32 v72, v20
	;; [unrolled: 1-line block ×3, first 2 shown]
	v_pk_add_f32 v[110:111], v[14:15], v[110:111] neg_lo:[0,1] neg_hi:[0,1]
	v_mov_b32_e32 v112, v45
	v_mov_b32_e32 v113, v13
	;; [unrolled: 1-line block ×3, first 2 shown]
	v_pk_add_f32 v[12:13], v[12:13], v[22:23]
	s_mov_b32 s21, 0x3f4a47b2
	v_pk_mul_f32 v[52:53], v[52:53], s[2:3]
	v_pk_add_f32 v[54:55], v[54:55], v[72:73] neg_lo:[0,1] neg_hi:[0,1]
	s_mov_b32 s8, s3
	s_mov_b32 s9, s2
	v_pk_add_f32 v[20:21], v[20:21], v[50:51]
	v_pk_add_f32 v[112:113], v[112:113], v[10:11] neg_lo:[0,1] neg_hi:[0,1]
	v_pk_add_f32 v[8:9], v[8:9], v[12:13]
	s_mov_b32 s18, 0xbf955555
	v_pk_mul_f32 v[22:23], v[110:111], s[20:21]
	s_mov_b32 s22, s21
	s_mov_b32 s23, s20
	v_pk_mul_f32 v[72:73], v[54:55], s[8:9]
	v_pk_add_f32 v[20:21], v[20:21], v[46:47]
	s_mov_b32 s0, 0xbee1c552
	v_pk_mul_f32 v[110:111], v[112:113], s[22:23]
	v_pk_fma_f32 v[12:13], v[12:13], s[18:19], v[8:9] op_sel_hi:[1,0,1]
	v_pk_fma_f32 v[112:113], v[112:113], s[22:23], v[22:23]
	v_pk_fma_f32 v[54:55], v[54:55], s[8:9], v[52:53]
	v_pk_add_f32 v[112:113], v[112:113], v[12:13]
	v_pk_fma_f32 v[54:55], v[20:21], s[0:1], v[54:55] op_sel_hi:[1,0,1]
	v_mov_b32_e32 v10, v49
	v_pk_add_f32 v[114:115], v[112:113], v[54:55]
	v_pk_add_f32 v[54:55], v[112:113], v[54:55] neg_lo:[0,1] neg_hi:[0,1]
	v_mov_b32_e32 v112, v114
	v_mov_b32_e32 v113, v55
	;; [unrolled: 1-line block ×3, first 2 shown]
	s_barrier
	ds_write2_b64 v142, v[8:9], v[112:113] offset1:50
	v_pk_add_f32 v[8:9], v[50:51], v[46:47] neg_lo:[0,1] neg_hi:[0,1]
	s_mov_b32 s10, 0xbf5ff5aa
	v_pk_add_f32 v[10:11], v[10:11], v[14:15] neg_lo:[0,1] neg_hi:[0,1]
	s_mov_b32 s14, 0x3f3bfb3b
	v_mov_b32_e32 v14, v110
	v_mov_b32_e32 v15, v23
	;; [unrolled: 1-line block ×6, first 2 shown]
	v_pk_fma_f32 v[14:15], v[10:11], s[14:15], v[14:15] op_sel_hi:[1,0,1] neg_lo:[1,0,1] neg_hi:[1,0,1]
	v_pk_fma_f32 v[44:45], v[8:9], s[10:11], v[44:45] op_sel_hi:[1,0,1] neg_lo:[1,0,1] neg_hi:[1,0,1]
	;; [unrolled: 1-line block ×4, first 2 shown]
	v_pk_add_f32 v[14:15], v[14:15], v[12:13]
	v_pk_fma_f32 v[44:45], v[20:21], s[0:1], v[44:45] op_sel_hi:[1,0,1]
	v_pk_add_f32 v[10:11], v[10:11], v[12:13]
	v_pk_fma_f32 v[8:9], v[20:21], s[0:1], v[8:9] op_sel_hi:[1,0,1]
	v_pk_add_f32 v[46:47], v[14:15], v[44:45]
	v_pk_add_f32 v[14:15], v[14:15], v[44:45] neg_lo:[0,1] neg_hi:[0,1]
	v_pk_add_f32 v[12:13], v[10:11], v[8:9] neg_lo:[0,1] neg_hi:[0,1]
	v_pk_add_f32 v[8:9], v[10:11], v[8:9]
	v_mov_b32_e32 v42, v68
	v_mov_b32_e32 v43, v68
	;; [unrolled: 1-line block ×31, first 2 shown]
	ds_write2_b64 v142, v[44:45], v[10:11] offset0:100 offset1:150
	ds_write2_b64 v142, v[8:9], v[14:15] offset0:200 offset1:250
	ds_write_b64 v142, v[54:55] offset:2400
	s_and_saveexec_b64 s[16:17], vcc
	s_cbranch_execz .LBB0_11
; %bb.10:
	v_mov_b32_e32 v46, v19
	v_mov_b32_e32 v47, v39
	;; [unrolled: 1-line block ×4, first 2 shown]
	v_pk_mul_f32 v[46:47], v[46:47], v[48:49]
	v_mov_b32_e32 v49, v28
	v_mov_b32_e32 v55, v29
	v_pk_mul_f32 v[28:29], v[28:29], v[74:75]
	v_mov_b32_e32 v21, v38
	v_mov_b32_e32 v45, v5
	;; [unrolled: 3-line block ×3, first 2 shown]
	v_mov_b32_e32 v10, v37
	v_mov_b32_e32 v11, v19
	;; [unrolled: 1-line block ×9, first 2 shown]
	v_pk_mul_f32 v[28:29], v[28:29], v[76:77]
	s_movk_i32 s1, 0x15e
	v_mov_b32_e32 v8, v36
	v_mov_b32_e32 v9, v18
	v_pk_mul_f32 v[10:11], v[10:11], v[108:109]
	v_mov_b32_e32 v12, v30
	v_mov_b32_e32 v13, v16
	v_pk_mul_f32 v[14:15], v[14:15], v[78:79]
	v_mov_b32_e32 v20, v18
	v_mov_b32_e32 v22, v109
	;; [unrolled: 1-line block ×7, first 2 shown]
	v_pk_mul_f32 v[54:55], v[54:55], v[72:73]
	v_pk_fma_f32 v[28:29], v[30:31], v[78:79], v[28:29] neg_lo:[0,0,1] neg_hi:[0,0,1]
	v_mov_b32_e32 v30, v37
	v_mad_legacy_u16 v23, v81, s1, v145
	v_pk_add_f32 v[4:5], v[38:39], v[4:5]
	v_pk_mul_f32 v[30:31], v[30:31], v[106:107]
	v_pk_fma_f32 v[72:73], v[12:13], v[76:77], v[14:15]
	v_pk_fma_f32 v[12:13], v[12:13], v[76:77], v[14:15] neg_lo:[0,0,1] neg_hi:[0,0,1]
	v_pk_fma_f32 v[14:15], v[8:9], v[106:107], v[10:11]
	v_pk_fma_f32 v[8:9], v[8:9], v[106:107], v[10:11] neg_lo:[0,0,1] neg_hi:[0,0,1]
	;; [unrolled: 2-line block ×4, first 2 shown]
	v_pk_fma_f32 v[30:31], v[36:37], v[108:109], v[30:31] neg_lo:[0,0,1] neg_hi:[0,0,1]
	v_mov_b32_e32 v38, v5
	v_mov_b32_e32 v73, v13
	;; [unrolled: 1-line block ×5, first 2 shown]
	v_pk_add_f32 v[36:37], v[28:29], v[30:31]
	v_pk_add_f32 v[38:39], v[4:5], v[38:39]
	v_lshlrev_b32_e32 v74, 3, v23
	v_pk_add_f32 v[22:23], v[72:73], v[14:15]
	v_pk_add_f32 v[44:45], v[10:11], v[18:19]
	v_mov_b32_e32 v8, v9
	v_mov_b32_e32 v9, v18
	v_mov_b32_e32 v12, v13
	v_mov_b32_e32 v13, v10
	v_mov_b32_e32 v50, v44
	v_mov_b32_e32 v51, v36
	v_mov_b32_e32 v39, v23
	v_mov_b32_e32 v31, v14
	v_mov_b32_e32 v29, v72
	v_pk_add_f32 v[8:9], v[8:9], v[12:13] neg_lo:[0,1] neg_hi:[0,1]
	v_mov_b32_e32 v10, v21
	v_mov_b32_e32 v11, v5
	;; [unrolled: 1-line block ×4, first 2 shown]
	v_pk_add_f32 v[50:51], v[50:51], v[38:39] neg_lo:[0,1] neg_hi:[0,1]
	v_mov_b32_e32 v39, v45
	v_mov_b32_e32 v52, v22
	;; [unrolled: 1-line block ×3, first 2 shown]
	v_pk_add_f32 v[14:15], v[30:31], v[28:29] neg_lo:[0,1] neg_hi:[0,1]
	v_pk_add_f32 v[4:5], v[10:11], v[12:13] neg_lo:[0,1] neg_hi:[0,1]
	;; [unrolled: 1-line block ×3, first 2 shown]
	v_pk_add_f32 v[36:37], v[38:39], v[52:53]
	v_mov_b32_e32 v45, v23
	v_mov_b32_e32 v16, v8
	;; [unrolled: 1-line block ×5, first 2 shown]
	v_pk_add_f32 v[22:23], v[44:45], v[36:37]
	v_mov_b32_e32 v10, v14
	v_mov_b32_e32 v11, v9
	;; [unrolled: 1-line block ×4, first 2 shown]
	v_pk_add_f32 v[16:17], v[16:17], v[18:19] neg_lo:[0,1] neg_hi:[0,1]
	v_pk_mul_f32 v[50:51], v[50:51], s[20:21]
	v_pk_add_f32 v[0:1], v[0:1], v[22:23]
	v_pk_add_f32 v[10:11], v[10:11], v[12:13] neg_lo:[0,1] neg_hi:[0,1]
	v_pk_mul_f32 v[16:17], v[16:17], s[2:3]
	v_pk_add_f32 v[8:9], v[8:9], v[4:5]
	v_pk_mul_f32 v[48:49], v[46:47], s[22:23]
	v_pk_fma_f32 v[46:47], v[46:47], s[22:23], v[50:51]
	v_pk_fma_f32 v[22:23], v[22:23], s[18:19], v[0:1] op_sel_hi:[1,0,1]
	v_pk_mul_f32 v[12:13], v[10:11], s[8:9]
	v_pk_fma_f32 v[10:11], v[10:11], s[8:9], v[16:17]
	v_pk_add_f32 v[8:9], v[8:9], v[14:15]
	v_pk_add_f32 v[36:37], v[46:47], v[22:23]
	v_pk_fma_f32 v[10:11], v[8:9], s[0:1], v[10:11] op_sel_hi:[1,0,1]
	v_pk_add_f32 v[4:5], v[4:5], v[14:15] neg_lo:[0,1] neg_hi:[0,1]
	v_pk_add_f32 v[18:19], v[36:37], v[10:11] neg_lo:[0,1] neg_hi:[0,1]
	v_pk_add_f32 v[10:11], v[36:37], v[10:11]
	v_mov_b32_e32 v21, v19
	v_mov_b32_e32 v20, v10
	;; [unrolled: 1-line block ×5, first 2 shown]
	ds_write2_b64 v74, v[0:1], v[20:21] offset1:50
	v_mov_b32_e32 v0, v48
	v_mov_b32_e32 v1, v51
	v_pk_add_f32 v[20:21], v[38:39], v[52:53] neg_lo:[0,1] neg_hi:[0,1]
	v_pk_fma_f32 v[14:15], v[4:5], s[10:11], v[14:15] op_sel_hi:[1,0,1] neg_lo:[1,0,1] neg_hi:[1,0,1]
	v_pk_fma_f32 v[4:5], v[4:5], s[10:11], v[16:17] op_sel_hi:[1,0,1] neg_lo:[0,0,1] neg_hi:[0,0,1]
	v_mov_b32_e32 v51, v49
	v_pk_fma_f32 v[0:1], v[20:21], s[14:15], v[0:1] op_sel_hi:[1,0,1] neg_lo:[1,0,1] neg_hi:[1,0,1]
	v_pk_fma_f32 v[14:15], v[8:9], s[0:1], v[14:15] op_sel_hi:[1,0,1]
	v_pk_fma_f32 v[4:5], v[8:9], s[0:1], v[4:5] op_sel_hi:[1,0,1]
	v_pk_fma_f32 v[8:9], v[20:21], s[14:15], v[50:51] op_sel_hi:[1,0,1] neg_lo:[0,0,1] neg_hi:[0,0,1]
	v_pk_add_f32 v[0:1], v[0:1], v[22:23]
	v_pk_add_f32 v[8:9], v[8:9], v[22:23]
	v_pk_add_f32 v[28:29], v[0:1], v[14:15] neg_lo:[0,1] neg_hi:[0,1]
	v_pk_add_f32 v[0:1], v[0:1], v[14:15]
	v_pk_add_f32 v[12:13], v[8:9], v[4:5]
	v_pk_add_f32 v[4:5], v[8:9], v[4:5] neg_lo:[0,1] neg_hi:[0,1]
	v_mov_b32_e32 v14, v0
	v_mov_b32_e32 v15, v29
	;; [unrolled: 1-line block ×7, first 2 shown]
	ds_write2_b64 v74, v[14:15], v[8:9] offset0:100 offset1:150
	ds_write2_b64 v74, v[12:13], v[28:29] offset0:200 offset1:250
	ds_write_b64 v74, v[18:19] offset:2400
.LBB0_11:
	s_or_b64 exec, exec, s[16:17]
	v_add_u32_e32 v44, 0xa00, v102
	s_waitcnt lgkmcnt(0)
	s_barrier
	ds_read2_b64 v[12:15], v44 offset0:30 offset1:205
	v_add_u32_e32 v45, 0x1400, v102
	ds_read2_b64 v[16:19], v45 offset0:60 offset1:235
	v_add_u32_e32 v46, 0x2000, v102
	;; [unrolled: 2-line block ×3, first 2 shown]
	s_waitcnt lgkmcnt(2)
	v_pk_mul_f32 v[0:1], v[68:69], v[12:13]
	ds_read2_b64 v[28:31], v47 offset0:56 offset1:231
	v_pk_fma_f32 v[4:5], v[42:43], v[12:13], v[0:1] op_sel:[0,0,1] op_sel_hi:[1,1,0]
	v_pk_fma_f32 v[0:1], v[42:43], v[12:13], v[0:1] op_sel:[0,0,1] op_sel_hi:[1,1,0] neg_lo:[0,0,1] neg_hi:[0,0,1]
	ds_read2_b64 v[8:11], v102 offset1:175
	v_mov_b32_e32 v5, v1
	s_waitcnt lgkmcnt(3)
	v_pk_mul_f32 v[0:1], v[70:71], v[16:17]
	v_mad_u64_u32 v[38:39], s[0:1], s6, v90, 0
	v_pk_fma_f32 v[12:13], v[40:41], v[16:17], v[0:1] op_sel:[0,0,1] op_sel_hi:[1,1,0]
	v_pk_fma_f32 v[0:1], v[40:41], v[16:17], v[0:1] op_sel:[0,0,1] op_sel_hi:[1,1,0] neg_lo:[0,0,1] neg_hi:[0,0,1]
	s_mov_b32 s0, 0x3f737871
	v_mov_b32_e32 v13, v1
	s_waitcnt lgkmcnt(2)
	v_pk_mul_f32 v[0:1], v[64:65], v[20:21]
	s_mov_b32 s2, 0x3f167918
	v_pk_fma_f32 v[16:17], v[34:35], v[20:21], v[0:1] op_sel:[0,0,1] op_sel_hi:[1,1,0]
	v_pk_fma_f32 v[0:1], v[34:35], v[20:21], v[0:1] op_sel:[0,0,1] op_sel_hi:[1,1,0] neg_lo:[0,0,1] neg_hi:[0,0,1]
	v_pk_add_f32 v[34:35], v[4:5], v[12:13] neg_lo:[0,1] neg_hi:[0,1]
	v_mov_b32_e32 v17, v1
	s_waitcnt lgkmcnt(1)
	v_pk_mul_f32 v[0:1], v[66:67], v[28:29]
	s_mov_b32 s6, 0x3e9e377a
	v_pk_fma_f32 v[20:21], v[32:33], v[28:29], v[0:1] op_sel:[0,0,1] op_sel_hi:[1,1,0]
	v_pk_fma_f32 v[0:1], v[32:33], v[28:29], v[0:1] op_sel:[0,0,1] op_sel_hi:[1,1,0] neg_lo:[0,0,1] neg_hi:[0,0,1]
	v_pk_mul_f32 v[28:29], v[60:61], v[14:15]
	v_mov_b32_e32 v21, v1
	v_pk_fma_f32 v[32:33], v[26:27], v[14:15], v[28:29] op_sel:[0,0,1] op_sel_hi:[1,1,0]
	v_pk_fma_f32 v[14:15], v[26:27], v[14:15], v[28:29] op_sel:[0,0,1] op_sel_hi:[1,1,0] neg_lo:[0,0,1] neg_hi:[0,0,1]
	v_pk_add_f32 v[28:29], v[12:13], v[16:17] neg_lo:[0,1] neg_hi:[0,1]
	v_mov_b32_e32 v33, v15
	v_pk_mul_f32 v[14:15], v[62:63], v[18:19]
	v_pk_add_f32 v[40:41], v[20:21], v[16:17] neg_lo:[0,1] neg_hi:[0,1]
	v_pk_fma_f32 v[26:27], v[24:25], v[18:19], v[14:15] op_sel:[0,0,1] op_sel_hi:[1,1,0]
	v_pk_fma_f32 v[14:15], v[24:25], v[18:19], v[14:15] op_sel:[0,0,1] op_sel_hi:[1,1,0] neg_lo:[0,0,1] neg_hi:[0,0,1]
	v_pk_add_f32 v[34:35], v[34:35], v[40:41]
	v_mov_b32_e32 v27, v15
	v_pk_mul_f32 v[14:15], v[56:57], v[22:23]
	s_waitcnt lgkmcnt(0)
	v_pk_add_f32 v[0:1], v[8:9], v[4:5]
	v_pk_fma_f32 v[18:19], v[6:7], v[22:23], v[14:15] op_sel:[0,0,1] op_sel_hi:[1,1,0]
	v_pk_fma_f32 v[6:7], v[6:7], v[22:23], v[14:15] op_sel:[0,0,1] op_sel_hi:[1,1,0] neg_lo:[0,0,1] neg_hi:[0,0,1]
	v_pk_add_f32 v[22:23], v[4:5], v[20:21] neg_lo:[0,1] neg_hi:[0,1]
	v_mov_b32_e32 v19, v7
	v_pk_mul_f32 v[6:7], v[58:59], v[30:31]
	v_pk_mul_f32 v[24:25], v[22:23], s[0:1] op_sel_hi:[1,0]
	v_pk_fma_f32 v[14:15], v[2:3], v[30:31], v[6:7] op_sel:[0,0,1] op_sel_hi:[1,1,0]
	v_pk_fma_f32 v[2:3], v[2:3], v[30:31], v[6:7] op_sel:[0,0,1] op_sel_hi:[1,1,0] neg_lo:[0,0,1] neg_hi:[0,0,1]
	v_pk_add_f32 v[6:7], v[12:13], v[16:17]
	v_pk_mul_f32 v[30:31], v[28:29], s[2:3] op_sel_hi:[1,0]
	v_pk_fma_f32 v[6:7], v[6:7], 0.5, v[8:9] op_sel_hi:[1,0,1] neg_lo:[1,0,0] neg_hi:[1,0,0]
	v_pk_add_f32 v[0:1], v[0:1], v[12:13]
	v_pk_add_f32 v[40:41], v[6:7], v[24:25] op_sel:[0,1] op_sel_hi:[1,0] neg_lo:[0,1] neg_hi:[0,1]
	v_pk_add_f32 v[6:7], v[6:7], v[24:25] op_sel:[0,1] op_sel_hi:[1,0]
	v_pk_add_f32 v[24:25], v[40:41], v[30:31] op_sel:[0,1] op_sel_hi:[1,0] neg_lo:[0,1] neg_hi:[0,1]
	v_pk_add_f32 v[6:7], v[6:7], v[30:31] op_sel:[0,1] op_sel_hi:[1,0]
	v_mov_b32_e32 v30, v24
	v_mov_b32_e32 v31, v7
	v_pk_fma_f32 v[30:31], v[34:35], s[6:7], v[30:31] op_sel_hi:[1,0,1]
	ds_write_b64 v102, v[30:31] offset:2800
	v_pk_add_f32 v[30:31], v[4:5], v[20:21]
	v_pk_add_f32 v[4:5], v[12:13], v[4:5] neg_lo:[0,1] neg_hi:[0,1]
	v_pk_add_f32 v[12:13], v[16:17], v[20:21] neg_lo:[0,1] neg_hi:[0,1]
	v_pk_add_f32 v[0:1], v[0:1], v[16:17]
	v_pk_fma_f32 v[8:9], v[30:31], 0.5, v[8:9] op_sel_hi:[1,0,1] neg_lo:[1,0,0] neg_hi:[1,0,0]
	v_pk_add_f32 v[4:5], v[4:5], v[12:13]
	v_pk_mul_f32 v[12:13], v[28:29], s[0:1] op_sel_hi:[1,0]
	v_pk_add_f32 v[0:1], v[0:1], v[20:21]
	v_pk_mul_f32 v[16:17], v[22:23], s[2:3] op_sel_hi:[1,0]
	v_pk_add_f32 v[20:21], v[8:9], v[12:13] op_sel:[0,1] op_sel_hi:[1,0]
	v_pk_add_f32 v[8:9], v[8:9], v[12:13] op_sel:[0,1] op_sel_hi:[1,0] neg_lo:[0,1] neg_hi:[0,1]
	v_mov_b32_e32 v15, v3
	v_pk_add_f32 v[2:3], v[10:11], v[32:33]
	v_pk_add_f32 v[8:9], v[8:9], v[16:17] op_sel:[0,1] op_sel_hi:[1,0]
	v_pk_add_f32 v[12:13], v[20:21], v[16:17] op_sel:[0,1] op_sel_hi:[1,0] neg_lo:[0,1] neg_hi:[0,1]
	v_pk_add_f32 v[2:3], v[2:3], v[26:27]
	v_mov_b32_e32 v16, v12
	v_mov_b32_e32 v17, v9
	;; [unrolled: 1-line block ×3, first 2 shown]
	v_pk_add_f32 v[2:3], v[2:3], v[18:19]
	v_pk_fma_f32 v[16:17], v[4:5], s[6:7], v[16:17] op_sel_hi:[1,0,1]
	v_pk_fma_f32 v[4:5], v[4:5], s[6:7], v[8:9] op_sel_hi:[1,0,1]
	v_mov_b32_e32 v7, v25
	v_pk_add_f32 v[2:3], v[2:3], v[14:15]
	ds_write_b64 v102, v[4:5] offset:8400
	v_pk_fma_f32 v[4:5], v[34:35], s[6:7], v[6:7] op_sel_hi:[1,0,1]
	ds_write_b64 v102, v[16:17] offset:5600
	ds_write_b64 v102, v[4:5] offset:11200
	ds_write2_b64 v102, v[0:1], v[2:3] offset1:175
	v_pk_add_f32 v[0:1], v[26:27], v[18:19]
	v_pk_add_f32 v[2:3], v[32:33], v[14:15] neg_lo:[0,1] neg_hi:[0,1]
	v_pk_fma_f32 v[0:1], v[0:1], 0.5, v[10:11] op_sel_hi:[1,0,1] neg_lo:[1,0,0] neg_hi:[1,0,0]
	v_pk_mul_f32 v[4:5], v[2:3], s[0:1] op_sel_hi:[1,0]
	v_pk_add_f32 v[6:7], v[26:27], v[18:19] neg_lo:[0,1] neg_hi:[0,1]
	v_pk_add_f32 v[12:13], v[32:33], v[26:27] neg_lo:[0,1] neg_hi:[0,1]
	;; [unrolled: 1-line block ×3, first 2 shown]
	v_pk_mul_f32 v[8:9], v[6:7], s[2:3] op_sel_hi:[1,0]
	v_pk_add_f32 v[12:13], v[12:13], v[16:17]
	v_pk_add_f32 v[16:17], v[0:1], v[4:5] op_sel:[0,1] op_sel_hi:[1,0] neg_lo:[0,1] neg_hi:[0,1]
	v_pk_add_f32 v[0:1], v[0:1], v[4:5] op_sel:[0,1] op_sel_hi:[1,0]
	v_pk_add_f32 v[4:5], v[16:17], v[8:9] op_sel:[0,1] op_sel_hi:[1,0] neg_lo:[0,1] neg_hi:[0,1]
	v_pk_add_f32 v[0:1], v[0:1], v[8:9] op_sel:[0,1] op_sel_hi:[1,0]
	v_mov_b32_e32 v8, v4
	v_mov_b32_e32 v9, v1
	v_pk_fma_f32 v[8:9], v[12:13], s[6:7], v[8:9] op_sel_hi:[1,0,1]
	ds_write_b64 v102, v[8:9] offset:4200
	v_pk_add_f32 v[8:9], v[32:33], v[14:15]
	v_pk_add_f32 v[14:15], v[18:19], v[14:15] neg_lo:[0,1] neg_hi:[0,1]
	v_pk_fma_f32 v[8:9], v[8:9], 0.5, v[10:11] op_sel_hi:[1,0,1] neg_lo:[1,0,0] neg_hi:[1,0,0]
	v_pk_add_f32 v[10:11], v[26:27], v[32:33] neg_lo:[0,1] neg_hi:[0,1]
	v_pk_mul_f32 v[6:7], v[6:7], s[0:1] op_sel_hi:[1,0]
	v_pk_add_f32 v[10:11], v[10:11], v[14:15]
	v_pk_mul_f32 v[2:3], v[2:3], s[2:3] op_sel_hi:[1,0]
	v_pk_add_f32 v[14:15], v[8:9], v[6:7] op_sel:[0,1] op_sel_hi:[1,0]
	v_pk_add_f32 v[6:7], v[8:9], v[6:7] op_sel:[0,1] op_sel_hi:[1,0] neg_lo:[0,1] neg_hi:[0,1]
	v_mov_b32_e32 v1, v5
	v_pk_add_f32 v[6:7], v[6:7], v[2:3] op_sel:[0,1] op_sel_hi:[1,0]
	v_pk_add_f32 v[2:3], v[14:15], v[2:3] op_sel:[0,1] op_sel_hi:[1,0] neg_lo:[0,1] neg_hi:[0,1]
	v_mov_b32_e32 v9, v7
	v_mov_b32_e32 v8, v2
	;; [unrolled: 1-line block ×3, first 2 shown]
	v_pk_fma_f32 v[8:9], v[10:11], s[6:7], v[8:9] op_sel_hi:[1,0,1]
	v_pk_fma_f32 v[2:3], v[10:11], s[6:7], v[6:7] op_sel_hi:[1,0,1]
	;; [unrolled: 1-line block ×3, first 2 shown]
	ds_write_b64 v102, v[8:9] offset:7000
	ds_write_b64 v102, v[2:3] offset:9800
	;; [unrolled: 1-line block ×3, first 2 shown]
	s_waitcnt lgkmcnt(0)
	s_barrier
	ds_read2_b64 v[0:3], v102 offset1:175
	v_mov_b32_e32 v4, v39
	v_mad_u64_u32 v[4:5], s[0:1], s7, v90, v[4:5]
	v_mov_b32_e32 v39, v4
	s_waitcnt lgkmcnt(0)
	v_mul_f32_e32 v4, v105, v1
	v_fmac_f32_e32 v4, v104, v0
	v_mul_f32_e32 v0, v105, v0
	s_mov_b32 s0, 0x835d548e
	v_fma_f32 v0, v104, v1, -v0
	s_mov_b32 s1, 0x3f42b97d
	v_cvt_f64_f32_e32 v[0:1], v0
	v_cvt_f64_f32_e32 v[4:5], v4
	v_mul_f64 v[0:1], v[0:1], s[0:1]
	v_mul_f64 v[4:5], v[4:5], s[0:1]
	v_cvt_f32_f64_e32 v9, v[0:1]
	v_mad_u64_u32 v[0:1], s[2:3], s4, v80, 0
	v_cvt_f32_f64_e32 v8, v[4:5]
	v_mov_b32_e32 v4, v1
	v_mad_u64_u32 v[10:11], s[2:3], s5, v80, v[4:5]
	ds_read2_b64 v[4:7], v45 offset0:60 offset1:235
	v_mov_b32_e32 v36, s12
	v_mov_b32_e32 v37, s13
	;; [unrolled: 1-line block ×3, first 2 shown]
	v_lshl_add_u64 v[10:11], v[38:39], 3, v[36:37]
	v_lshl_add_u64 v[0:1], v[0:1], 3, v[10:11]
	global_store_dwordx2 v[0:1], v[8:9], off
	s_waitcnt lgkmcnt(0)
	v_mul_f32_e32 v8, v99, v7
	v_fmac_f32_e32 v8, v98, v6
	v_mul_f32_e32 v6, v99, v6
	v_fma_f32 v6, v98, v7, -v6
	v_cvt_f64_f32_e32 v[8:9], v8
	v_cvt_f64_f32_e32 v[6:7], v6
	v_mul_f64 v[8:9], v[8:9], s[0:1]
	v_mul_f64 v[6:7], v[6:7], s[0:1]
	v_cvt_f32_f64_e32 v8, v[8:9]
	v_cvt_f32_f64_e32 v9, v[6:7]
	v_mul_f32_e32 v6, v101, v3
	v_fmac_f32_e32 v6, v100, v2
	v_mul_f32_e32 v2, v101, v2
	v_mov_b32_e32 v14, 0x1b58
	v_fma_f32 v2, v100, v3, -v2
	v_mad_u64_u32 v[0:1], s[2:3], s4, v14, v[0:1]
	s_mul_i32 s6, s5, 0x1b58
	v_cvt_f64_f32_e32 v[6:7], v6
	v_cvt_f64_f32_e32 v[2:3], v2
	v_add_u32_e32 v1, s6, v1
	v_mul_f64 v[6:7], v[6:7], s[0:1]
	v_mul_f64 v[2:3], v[2:3], s[0:1]
	v_mov_b32_e32 v15, 0xffffea20
	global_store_dwordx2 v[0:1], v[8:9], off
	v_cvt_f32_f64_e32 v6, v[6:7]
	v_cvt_f32_f64_e32 v7, v[2:3]
	v_mad_u64_u32 v[10:11], s[2:3], s4, v15, v[0:1]
	ds_read2_b64 v[0:3], v46 offset0:26 offset1:201
	s_mul_i32 s2, s5, 0xffffea20
	s_sub_i32 s5, s2, s4
	v_add_u32_e32 v11, s5, v11
	global_store_dwordx2 v[10:11], v[6:7], off
	s_waitcnt lgkmcnt(0)
	v_mul_f32_e32 v6, v95, v1
	v_fmac_f32_e32 v6, v94, v0
	v_cvt_f64_f32_e32 v[6:7], v6
	v_mul_f64 v[6:7], v[6:7], s[0:1]
	v_cvt_f32_f64_e32 v12, v[6:7]
	ds_read2_b64 v[6:9], v44 offset0:30 offset1:205
	v_mul_f32_e32 v0, v95, v0
	v_fma_f32 v0, v94, v1, -v0
	v_cvt_f64_f32_e32 v[0:1], v0
	v_mul_f64 v[0:1], v[0:1], s[0:1]
	v_cvt_f32_f64_e32 v13, v[0:1]
	v_mad_u64_u32 v[0:1], s[2:3], s4, v14, v[10:11]
	s_waitcnt lgkmcnt(0)
	v_mul_f32_e32 v10, v93, v7
	v_fmac_f32_e32 v10, v92, v6
	v_mul_f32_e32 v6, v93, v6
	v_fma_f32 v6, v92, v7, -v6
	v_cvt_f64_f32_e32 v[10:11], v10
	v_cvt_f64_f32_e32 v[6:7], v6
	v_add_u32_e32 v1, s6, v1
	v_mul_f64 v[10:11], v[10:11], s[0:1]
	v_mul_f64 v[6:7], v[6:7], s[0:1]
	global_store_dwordx2 v[0:1], v[12:13], off
	v_cvt_f32_f64_e32 v10, v[10:11]
	v_cvt_f32_f64_e32 v11, v[6:7]
	v_mad_u64_u32 v[0:1], s[2:3], s4, v15, v[0:1]
	v_mul_f32_e32 v6, v97, v3
	v_add_u32_e32 v1, s5, v1
	v_fmac_f32_e32 v6, v96, v2
	v_mul_f32_e32 v2, v97, v2
	global_store_dwordx2 v[0:1], v[10:11], off
	v_fma_f32 v2, v96, v3, -v2
	v_mad_u64_u32 v[10:11], s[2:3], s4, v14, v[0:1]
	v_mul_f32_e32 v0, v89, v9
	v_cvt_f64_f32_e32 v[6:7], v6
	v_cvt_f64_f32_e32 v[2:3], v2
	v_fmac_f32_e32 v0, v88, v8
	v_mul_f64 v[6:7], v[6:7], s[0:1]
	v_mul_f64 v[2:3], v[2:3], s[0:1]
	v_cvt_f64_f32_e32 v[0:1], v0
	v_cvt_f32_f64_e32 v6, v[6:7]
	v_cvt_f32_f64_e32 v7, v[2:3]
	v_add_u32_e32 v11, s6, v11
	v_mul_f64 v[0:1], v[0:1], s[0:1]
	global_store_dwordx2 v[10:11], v[6:7], off
	v_cvt_f32_f64_e32 v6, v[0:1]
	v_mul_f32_e32 v0, v89, v8
	v_fma_f32 v0, v88, v9, -v0
	v_cvt_f64_f32_e32 v[0:1], v0
	v_mul_f64 v[0:1], v[0:1], s[0:1]
	v_cvt_f32_f64_e32 v7, v[0:1]
	ds_read2_b64 v[0:3], v47 offset0:56 offset1:231
	v_mad_u64_u32 v[8:9], s[2:3], s4, v15, v[10:11]
	v_add_u32_e32 v9, s5, v9
	global_store_dwordx2 v[8:9], v[6:7], off
	s_waitcnt lgkmcnt(0)
	v_mul_f32_e32 v6, v87, v1
	v_fmac_f32_e32 v6, v86, v0
	v_mul_f32_e32 v0, v87, v0
	v_fma_f32 v0, v86, v1, -v0
	v_cvt_f64_f32_e32 v[6:7], v6
	v_cvt_f64_f32_e32 v[0:1], v0
	v_mul_f64 v[6:7], v[6:7], s[0:1]
	v_mul_f64 v[0:1], v[0:1], s[0:1]
	v_cvt_f32_f64_e32 v6, v[6:7]
	v_cvt_f32_f64_e32 v7, v[0:1]
	v_mad_u64_u32 v[0:1], s[2:3], s4, v14, v[8:9]
	v_add_u32_e32 v1, s6, v1
	global_store_dwordx2 v[0:1], v[6:7], off
	v_mul_f32_e32 v6, v83, v5
	v_fmac_f32_e32 v6, v82, v4
	v_mul_f32_e32 v4, v83, v4
	v_fma_f32 v4, v82, v5, -v4
	v_cvt_f64_f32_e32 v[6:7], v6
	v_cvt_f64_f32_e32 v[4:5], v4
	v_mul_f64 v[6:7], v[6:7], s[0:1]
	v_mul_f64 v[4:5], v[4:5], s[0:1]
	v_cvt_f32_f64_e32 v6, v[6:7]
	v_cvt_f32_f64_e32 v7, v[4:5]
	v_mul_f32_e32 v4, v85, v3
	v_fmac_f32_e32 v4, v84, v2
	v_mul_f32_e32 v2, v85, v2
	v_mad_u64_u32 v[0:1], s[2:3], s4, v15, v[0:1]
	v_fma_f32 v2, v84, v3, -v2
	v_add_u32_e32 v1, s5, v1
	v_cvt_f64_f32_e32 v[4:5], v4
	v_cvt_f64_f32_e32 v[2:3], v2
	global_store_dwordx2 v[0:1], v[6:7], off
	v_mul_f64 v[4:5], v[4:5], s[0:1]
	v_mul_f64 v[2:3], v[2:3], s[0:1]
	v_mad_u64_u32 v[0:1], s[0:1], s4, v14, v[0:1]
	v_cvt_f32_f64_e32 v4, v[4:5]
	v_cvt_f32_f64_e32 v5, v[2:3]
	v_add_u32_e32 v1, s6, v1
	global_store_dwordx2 v[0:1], v[4:5], off
.LBB0_12:
	s_endpgm
	.section	.rodata,"a",@progbits
	.p2align	6, 0x0
	.amdhsa_kernel bluestein_single_back_len1750_dim1_sp_op_CI_CI
		.amdhsa_group_segment_fixed_size 14000
		.amdhsa_private_segment_fixed_size 0
		.amdhsa_kernarg_size 104
		.amdhsa_user_sgpr_count 2
		.amdhsa_user_sgpr_dispatch_ptr 0
		.amdhsa_user_sgpr_queue_ptr 0
		.amdhsa_user_sgpr_kernarg_segment_ptr 1
		.amdhsa_user_sgpr_dispatch_id 0
		.amdhsa_user_sgpr_kernarg_preload_length 0
		.amdhsa_user_sgpr_kernarg_preload_offset 0
		.amdhsa_user_sgpr_private_segment_size 0
		.amdhsa_uses_dynamic_stack 0
		.amdhsa_enable_private_segment 0
		.amdhsa_system_sgpr_workgroup_id_x 1
		.amdhsa_system_sgpr_workgroup_id_y 0
		.amdhsa_system_sgpr_workgroup_id_z 0
		.amdhsa_system_sgpr_workgroup_info 0
		.amdhsa_system_vgpr_workitem_id 0
		.amdhsa_next_free_vgpr 192
		.amdhsa_next_free_sgpr 26
		.amdhsa_accum_offset 192
		.amdhsa_reserve_vcc 1
		.amdhsa_float_round_mode_32 0
		.amdhsa_float_round_mode_16_64 0
		.amdhsa_float_denorm_mode_32 3
		.amdhsa_float_denorm_mode_16_64 3
		.amdhsa_dx10_clamp 1
		.amdhsa_ieee_mode 1
		.amdhsa_fp16_overflow 0
		.amdhsa_tg_split 0
		.amdhsa_exception_fp_ieee_invalid_op 0
		.amdhsa_exception_fp_denorm_src 0
		.amdhsa_exception_fp_ieee_div_zero 0
		.amdhsa_exception_fp_ieee_overflow 0
		.amdhsa_exception_fp_ieee_underflow 0
		.amdhsa_exception_fp_ieee_inexact 0
		.amdhsa_exception_int_div_zero 0
	.end_amdhsa_kernel
	.text
.Lfunc_end0:
	.size	bluestein_single_back_len1750_dim1_sp_op_CI_CI, .Lfunc_end0-bluestein_single_back_len1750_dim1_sp_op_CI_CI
                                        ; -- End function
	.section	.AMDGPU.csdata,"",@progbits
; Kernel info:
; codeLenInByte = 12660
; NumSgprs: 32
; NumVgprs: 192
; NumAgprs: 0
; TotalNumVgprs: 192
; ScratchSize: 0
; MemoryBound: 0
; FloatMode: 240
; IeeeMode: 1
; LDSByteSize: 14000 bytes/workgroup (compile time only)
; SGPRBlocks: 3
; VGPRBlocks: 23
; NumSGPRsForWavesPerEU: 32
; NumVGPRsForWavesPerEU: 192
; AccumOffset: 192
; Occupancy: 2
; WaveLimiterHint : 1
; COMPUTE_PGM_RSRC2:SCRATCH_EN: 0
; COMPUTE_PGM_RSRC2:USER_SGPR: 2
; COMPUTE_PGM_RSRC2:TRAP_HANDLER: 0
; COMPUTE_PGM_RSRC2:TGID_X_EN: 1
; COMPUTE_PGM_RSRC2:TGID_Y_EN: 0
; COMPUTE_PGM_RSRC2:TGID_Z_EN: 0
; COMPUTE_PGM_RSRC2:TIDIG_COMP_CNT: 0
; COMPUTE_PGM_RSRC3_GFX90A:ACCUM_OFFSET: 47
; COMPUTE_PGM_RSRC3_GFX90A:TG_SPLIT: 0
	.text
	.p2alignl 6, 3212836864
	.fill 256, 4, 3212836864
	.type	__hip_cuid_379690a00494da7a,@object ; @__hip_cuid_379690a00494da7a
	.section	.bss,"aw",@nobits
	.globl	__hip_cuid_379690a00494da7a
__hip_cuid_379690a00494da7a:
	.byte	0                               ; 0x0
	.size	__hip_cuid_379690a00494da7a, 1

	.ident	"AMD clang version 19.0.0git (https://github.com/RadeonOpenCompute/llvm-project roc-6.4.0 25133 c7fe45cf4b819c5991fe208aaa96edf142730f1d)"
	.section	".note.GNU-stack","",@progbits
	.addrsig
	.addrsig_sym __hip_cuid_379690a00494da7a
	.amdgpu_metadata
---
amdhsa.kernels:
  - .agpr_count:     0
    .args:
      - .actual_access:  read_only
        .address_space:  global
        .offset:         0
        .size:           8
        .value_kind:     global_buffer
      - .actual_access:  read_only
        .address_space:  global
        .offset:         8
        .size:           8
        .value_kind:     global_buffer
      - .actual_access:  read_only
        .address_space:  global
        .offset:         16
        .size:           8
        .value_kind:     global_buffer
      - .actual_access:  read_only
        .address_space:  global
        .offset:         24
        .size:           8
        .value_kind:     global_buffer
      - .actual_access:  read_only
        .address_space:  global
        .offset:         32
        .size:           8
        .value_kind:     global_buffer
      - .offset:         40
        .size:           8
        .value_kind:     by_value
      - .address_space:  global
        .offset:         48
        .size:           8
        .value_kind:     global_buffer
      - .address_space:  global
        .offset:         56
        .size:           8
        .value_kind:     global_buffer
      - .address_space:  global
        .offset:         64
        .size:           8
        .value_kind:     global_buffer
      - .address_space:  global
        .offset:         72
        .size:           8
        .value_kind:     global_buffer
      - .offset:         80
        .size:           4
        .value_kind:     by_value
      - .address_space:  global
        .offset:         88
        .size:           8
        .value_kind:     global_buffer
      - .address_space:  global
        .offset:         96
        .size:           8
        .value_kind:     global_buffer
    .group_segment_fixed_size: 14000
    .kernarg_segment_align: 8
    .kernarg_segment_size: 104
    .language:       OpenCL C
    .language_version:
      - 2
      - 0
    .max_flat_workgroup_size: 175
    .name:           bluestein_single_back_len1750_dim1_sp_op_CI_CI
    .private_segment_fixed_size: 0
    .sgpr_count:     32
    .sgpr_spill_count: 0
    .symbol:         bluestein_single_back_len1750_dim1_sp_op_CI_CI.kd
    .uniform_work_group_size: 1
    .uses_dynamic_stack: false
    .vgpr_count:     192
    .vgpr_spill_count: 0
    .wavefront_size: 64
amdhsa.target:   amdgcn-amd-amdhsa--gfx950
amdhsa.version:
  - 1
  - 2
...

	.end_amdgpu_metadata
